;; amdgpu-corpus repo=ROCm/rocFFT kind=compiled arch=gfx1030 opt=O3
	.text
	.amdgcn_target "amdgcn-amd-amdhsa--gfx1030"
	.amdhsa_code_object_version 6
	.protected	fft_rtc_back_len80_factors_2_2_4_5_wgs_255_tpt_5_halfLds_dim2_sp_ip_CI_sbcc_twdbase8_3step_dirReg ; -- Begin function fft_rtc_back_len80_factors_2_2_4_5_wgs_255_tpt_5_halfLds_dim2_sp_ip_CI_sbcc_twdbase8_3step_dirReg
	.globl	fft_rtc_back_len80_factors_2_2_4_5_wgs_255_tpt_5_halfLds_dim2_sp_ip_CI_sbcc_twdbase8_3step_dirReg
	.p2align	8
	.type	fft_rtc_back_len80_factors_2_2_4_5_wgs_255_tpt_5_halfLds_dim2_sp_ip_CI_sbcc_twdbase8_3step_dirReg,@function
fft_rtc_back_len80_factors_2_2_4_5_wgs_255_tpt_5_halfLds_dim2_sp_ip_CI_sbcc_twdbase8_3step_dirReg: ; @fft_rtc_back_len80_factors_2_2_4_5_wgs_255_tpt_5_halfLds_dim2_sp_ip_CI_sbcc_twdbase8_3step_dirReg
; %bb.0:
	s_load_dwordx4 s[0:3], s[4:5], 0x10
	s_mov_b64 s[20:21], 0
	s_waitcnt lgkmcnt(0)
	s_load_dwordx2 s[14:15], s[0:1], 0x8
	s_waitcnt lgkmcnt(0)
	s_add_u32 s0, s14, -1
	s_addc_u32 s1, s15, -1
	s_add_u32 s7, 0, 0x504ad00
	s_addc_u32 s8, 0, 21
	s_mul_hi_u32 s10, s7, 0xffffffcd
	s_add_i32 s8, s8, 0x50504f0
	s_sub_i32 s10, s10, s7
	s_mul_i32 s12, s8, 0xffffffcd
	s_mul_i32 s9, s7, 0xffffffcd
	s_add_i32 s10, s10, s12
	s_mul_hi_u32 s11, s7, s9
	s_mul_i32 s16, s7, s10
	s_mul_hi_u32 s12, s7, s10
	s_mul_hi_u32 s13, s8, s9
	s_mul_i32 s9, s8, s9
	s_add_u32 s11, s11, s16
	s_addc_u32 s12, 0, s12
	s_mul_hi_u32 s17, s8, s10
	s_add_u32 s9, s11, s9
	s_mul_i32 s10, s8, s10
	s_addc_u32 s9, s12, s13
	s_addc_u32 s11, s17, 0
	s_add_u32 s9, s9, s10
	v_add_co_u32 v1, s7, s7, s9
	s_addc_u32 s9, 0, s11
	s_cmp_lg_u32 s7, 0
	s_addc_u32 s7, s8, s9
	v_readfirstlane_b32 s8, v1
	s_mul_i32 s10, s0, s7
	s_mul_hi_u32 s9, s0, s7
	s_mul_hi_u32 s11, s1, s7
	s_mul_i32 s7, s1, s7
	s_mul_hi_u32 s12, s0, s8
	s_mul_hi_u32 s13, s1, s8
	s_mul_i32 s8, s1, s8
	s_add_u32 s10, s12, s10
	s_addc_u32 s9, 0, s9
	s_add_u32 s8, s10, s8
	s_addc_u32 s8, s9, s13
	s_addc_u32 s9, s11, 0
	s_add_u32 s8, s8, s7
	s_addc_u32 s9, 0, s9
	s_mul_i32 s10, s8, 51
	s_add_u32 s7, s8, 1
	v_sub_co_u32 v1, s0, s0, s10
	s_mul_hi_u32 s10, s8, 51
	s_addc_u32 s11, s9, 0
	s_mul_i32 s12, s9, 51
	v_sub_co_u32 v2, s13, v1, 51
	s_add_u32 s16, s8, 2
	s_addc_u32 s17, s9, 0
	s_add_i32 s10, s10, s12
	s_cmp_lg_u32 s0, 0
	v_readfirstlane_b32 s0, v2
	s_subb_u32 s1, s1, s10
	s_cmp_lg_u32 s13, 0
	s_load_dwordx2 s[12:13], s[2:3], 0x0
	s_subb_u32 s10, s1, 0
	s_cmp_gt_u32 s0, 50
	s_cselect_b32 s0, -1, 0
	s_cmp_eq_u32 s10, 0
	v_readfirstlane_b32 s10, v1
	s_cselect_b32 s0, s0, -1
	s_cmp_lg_u32 s0, 0
	s_cselect_b32 s0, s16, s7
	s_cselect_b32 s11, s17, s11
	s_cmp_gt_u32 s10, 50
	s_load_dwordx2 s[16:17], s[4:5], 0x50
	s_cselect_b32 s7, -1, 0
	s_cmp_eq_u32 s1, 0
	s_cselect_b32 s1, s7, -1
	s_mov_b32 s7, 0
	s_cmp_lg_u32 s1, 0
	s_cselect_b32 s0, s0, s8
	s_cselect_b32 s1, s11, s9
	s_add_u32 s0, s0, 1
	s_addc_u32 s1, s1, 0
	v_cmp_lt_u64_e64 s8, s[6:7], s[0:1]
	s_mov_b32 s7, -1
	s_and_b32 vcc_lo, exec_lo, s8
	s_cbranch_vccnz .LBB0_2
; %bb.1:
	v_cvt_f32_u32_e32 v1, s0
	s_sub_i32 s9, 0, s0
	v_rcp_iflag_f32_e32 v1, v1
	v_mul_f32_e32 v1, 0x4f7ffffe, v1
	v_cvt_u32_f32_e32 v1, v1
	v_readfirstlane_b32 s8, v1
	s_mul_i32 s9, s9, s8
	s_mul_hi_u32 s9, s8, s9
	s_add_i32 s8, s8, s9
	s_mul_hi_u32 s8, s6, s8
	s_mul_i32 s9, s8, s0
	s_add_i32 s10, s8, 1
	s_sub_i32 s9, s6, s9
	s_sub_i32 s11, s9, s0
	s_cmp_ge_u32 s9, s0
	s_cselect_b32 s8, s10, s8
	s_cselect_b32 s9, s11, s9
	s_add_i32 s10, s8, 1
	s_cmp_ge_u32 s9, s0
	s_cselect_b32 s20, s10, s8
.LBB0_2:
	s_load_dwordx4 s[8:11], s[2:3], 0x8
	v_mul_u32_u24_e32 v1, 0x506, v0
	s_mul_i32 s1, s20, s1
	s_mul_hi_u32 s2, s20, s0
	s_mul_i32 s0, s20, s0
	s_add_i32 s2, s2, s1
	v_lshrrev_b32_e32 v78, 16, v1
	s_sub_u32 s0, s6, s0
	s_subb_u32 s1, 0, s2
	s_load_dwordx2 s[18:19], s[4:5], 0x0
	s_mul_hi_u32 s2, s0, 51
	v_mul_lo_u16 v1, v78, 51
	s_mul_i32 s1, s1, 51
	s_mul_i32 s6, s0, 51
	s_add_i32 s21, s2, s1
	v_add_nc_u32_e32 v35, 5, v78
	v_sub_nc_u16 v1, v0, v1
	v_add_nc_u32_e32 v36, 10, v78
	v_add_nc_u32_e32 v37, 15, v78
	;; [unrolled: 1-line block ×3, first 2 shown]
	s_waitcnt lgkmcnt(0)
	s_mul_i32 s1, s6, s9
	s_mul_hi_u32 s2, s6, s8
	s_mul_i32 s0, s21, s8
	s_mul_i32 s11, s11, s20
	s_mul_hi_u32 s22, s10, s20
	s_add_i32 s1, s2, s1
	s_mul_i32 s3, s6, s8
	s_mul_i32 s2, s10, s20
	s_add_i32 s1, s1, s0
	s_add_i32 s22, s22, s11
	s_add_u32 s2, s2, s3
	s_addc_u32 s3, s22, s1
	v_and_b32_e32 v77, 0xffff, v1
	s_add_u32 s0, s6, 51
	s_addc_u32 s1, s21, 0
	v_add_nc_u32_e32 v39, 25, v78
	v_cmp_gt_u64_e64 s10, s[0:1], s[14:15]
	v_add_co_u32 v25, s6, s6, v77
	v_cmp_le_u64_e64 s1, s[0:1], s[14:15]
	v_add_co_ci_u32_e64 v26, null, s21, 0, s6
	v_add_nc_u32_e32 v40, 30, v78
	v_add_nc_u32_e32 v41, 35, v78
	s_and_b32 vcc_lo, exec_lo, s10
	s_cbranch_vccnz .LBB0_4
; %bb.3:
	v_mad_u64_u32 v[1:2], null, s8, v77, 0
	v_mad_u64_u32 v[3:4], null, s12, v78, 0
	v_or_b32_e32 v12, 40, v78
	v_add_nc_u32_e32 v80, 5, v78
	v_add_nc_u32_e32 v14, 45, v78
	s_lshl_b64 s[6:7], s[2:3], 3
	v_add_nc_u32_e32 v79, 10, v78
	s_add_u32 s0, s16, s6
	v_mad_u64_u32 v[5:6], null, s9, v77, v[2:3]
	v_mad_u64_u32 v[6:7], null, s12, v12, 0
	;; [unrolled: 1-line block ×4, first 2 shown]
	v_mov_b32_e32 v2, v5
	v_mad_u64_u32 v[4:5], null, s13, v78, v[4:5]
	v_mov_b32_e32 v5, v7
	s_addc_u32 s6, s17, s7
	v_lshlrev_b64 v[1:2], 3, v[1:2]
	v_add_nc_u32_e32 v81, 15, v78
	v_add_nc_u32_e32 v23, 55, v78
	v_mad_u64_u32 v[12:13], null, s13, v12, v[5:6]
	v_mov_b32_e32 v5, v9
	v_add_co_u32 v53, vcc_lo, s0, v1
	v_add_co_ci_u32_e32 v54, vcc_lo, s6, v2, vcc_lo
	v_lshlrev_b64 v[1:2], 3, v[3:4]
	v_mov_b32_e32 v7, v12
	v_mad_u64_u32 v[3:4], null, s13, v80, v[5:6]
	v_mov_b32_e32 v4, v11
	v_mad_u64_u32 v[12:13], null, s12, v79, 0
	v_lshlrev_b64 v[5:6], 3, v[6:7]
	v_add_co_u32 v1, vcc_lo, v53, v1
	v_add_co_ci_u32_e32 v2, vcc_lo, v54, v2, vcc_lo
	v_mov_b32_e32 v9, v3
	v_mad_u64_u32 v[14:15], null, s13, v14, v[4:5]
	v_mov_b32_e32 v3, v13
	v_add_co_u32 v4, vcc_lo, v53, v5
	v_add_co_ci_u32_e32 v5, vcc_lo, v54, v6, vcc_lo
	v_lshlrev_b64 v[6:7], 3, v[8:9]
	v_mov_b32_e32 v11, v14
	v_add_nc_u32_e32 v14, 50, v78
	v_mad_u64_u32 v[8:9], null, s13, v79, v[3:4]
	v_mad_u64_u32 v[19:20], null, s12, v81, 0
	;; [unrolled: 1-line block ×3, first 2 shown]
	v_lshlrev_b64 v[9:10], 3, v[10:11]
	v_add_co_u32 v6, vcc_lo, v53, v6
	v_mov_b32_e32 v13, v8
	v_add_co_ci_u32_e32 v7, vcc_lo, v54, v7, vcc_lo
	v_mov_b32_e32 v3, v18
	v_add_co_u32 v8, vcc_lo, v53, v9
	v_add_co_ci_u32_e32 v9, vcc_lo, v54, v10, vcc_lo
	v_lshlrev_b64 v[10:11], 3, v[12:13]
	v_mov_b32_e32 v12, v20
	v_mad_u64_u32 v[20:21], null, s13, v14, v[3:4]
	v_mad_u64_u32 v[21:22], null, s12, v23, 0
	v_mad_u64_u32 v[12:13], null, s13, v81, v[12:13]
	s_clause 0x3
	global_load_dwordx2 v[13:14], v[1:2], off
	global_load_dwordx2 v[15:16], v[4:5], off
	;; [unrolled: 1-line block ×4, first 2 shown]
	v_add_co_u32 v5, vcc_lo, v53, v10
	v_mov_b32_e32 v18, v20
	v_mov_b32_e32 v7, v22
	v_add_co_ci_u32_e32 v6, vcc_lo, v54, v11, vcc_lo
	v_add_nc_u32_e32 v42, 20, v78
	v_lshlrev_b64 v[8:9], 3, v[17:18]
	v_mov_b32_e32 v20, v12
	v_add_nc_u32_e32 v31, 60, v78
	v_add_nc_u32_e32 v47, 25, v78
	v_mad_u64_u32 v[17:18], null, s12, v42, 0
	v_mad_u64_u32 v[10:11], null, s13, v23, v[7:8]
	v_lshlrev_b64 v[11:12], 3, v[19:20]
	v_add_co_u32 v7, vcc_lo, v53, v8
	v_add_co_ci_u32_e32 v8, vcc_lo, v54, v9, vcc_lo
	v_mov_b32_e32 v9, v18
	v_mov_b32_e32 v22, v10
	v_add_co_u32 v19, vcc_lo, v53, v11
	v_mad_u64_u32 v[29:30], null, s12, v47, 0
	v_lshlrev_b64 v[10:11], 3, v[21:22]
	v_mad_u64_u32 v[21:22], null, s12, v31, 0
	v_add_co_ci_u32_e32 v20, vcc_lo, v54, v12, vcc_lo
	v_add_nc_u32_e32 v48, 30, v78
	v_mad_u64_u32 v[23:24], null, s13, v42, v[9:10]
	v_add_co_u32 v27, vcc_lo, v53, v10
	v_mov_b32_e32 v9, v22
	v_add_co_ci_u32_e32 v28, vcc_lo, v54, v11, vcc_lo
	v_add_nc_u32_e32 v34, 0x46, v78
	v_mov_b32_e32 v18, v23
	v_mad_u64_u32 v[22:23], null, s13, v31, v[9:10]
	s_clause 0x3
	global_load_dwordx2 v[9:10], v[5:6], off
	global_load_dwordx2 v[11:12], v[7:8], off
	;; [unrolled: 1-line block ×4, first 2 shown]
	v_mov_b32_e32 v19, v30
	v_add_nc_u32_e32 v31, 0x41, v78
	v_lshlrev_b64 v[17:18], 3, v[17:18]
	v_mad_u64_u32 v[27:28], null, s12, v48, 0
	v_mad_u64_u32 v[19:20], null, s13, v47, v[19:20]
	;; [unrolled: 1-line block ×3, first 2 shown]
	v_lshlrev_b64 v[20:21], 3, v[21:22]
	v_add_co_u32 v17, vcc_lo, v53, v17
	v_add_co_ci_u32_e32 v18, vcc_lo, v54, v18, vcc_lo
	v_mov_b32_e32 v30, v19
	v_mov_b32_e32 v19, v24
	v_add_nc_u32_e32 v49, 35, v78
	v_add_nc_u32_e32 v50, 0x4b, v78
	v_mad_u64_u32 v[31:32], null, s13, v31, v[19:20]
	v_mad_u64_u32 v[32:33], null, s12, v34, 0
	v_add_co_u32 v19, vcc_lo, v53, v20
	v_add_co_ci_u32_e32 v20, vcc_lo, v54, v21, vcc_lo
	v_mov_b32_e32 v21, v28
	v_lshlrev_b64 v[28:29], 3, v[29:30]
	v_mov_b32_e32 v24, v31
	v_mad_u64_u32 v[30:31], null, s12, v49, 0
	v_mad_u64_u32 v[21:22], null, s13, v48, v[21:22]
	v_mov_b32_e32 v22, v33
	v_mad_u64_u32 v[43:44], null, s12, v50, 0
	v_add_co_u32 v45, vcc_lo, v53, v28
	v_mad_u64_u32 v[33:34], null, s13, v34, v[22:23]
	v_lshlrev_b64 v[23:24], 3, v[23:24]
	v_mov_b32_e32 v22, v31
	v_add_co_ci_u32_e32 v46, vcc_lo, v54, v29, vcc_lo
	v_mov_b32_e32 v28, v21
	v_mad_u64_u32 v[21:22], null, s13, v49, v[22:23]
	v_mov_b32_e32 v22, v44
	v_add_co_u32 v23, vcc_lo, v53, v23
	v_lshlrev_b64 v[27:28], 3, v[27:28]
	v_lshlrev_b64 v[32:33], 3, v[32:33]
	v_add_co_ci_u32_e32 v24, vcc_lo, v54, v24, vcc_lo
	v_mad_u64_u32 v[50:51], null, s13, v50, v[22:23]
	v_mov_b32_e32 v31, v21
	v_add_co_u32 v51, vcc_lo, v53, v27
	v_add_co_ci_u32_e32 v52, vcc_lo, v54, v28, vcc_lo
	v_lshlrev_b64 v[21:22], 3, v[30:31]
	v_mov_b32_e32 v44, v50
	v_add_co_u32 v29, vcc_lo, v53, v32
	v_add_co_ci_u32_e32 v30, vcc_lo, v54, v33, vcc_lo
	v_lshlrev_b64 v[27:28], 3, v[43:44]
	v_add_co_u32 v31, vcc_lo, v53, v21
	v_add_co_ci_u32_e32 v32, vcc_lo, v54, v22, vcc_lo
	v_add_co_u32 v43, vcc_lo, v53, v27
	v_add_co_ci_u32_e32 v44, vcc_lo, v54, v28, vcc_lo
	s_clause 0x7
	global_load_dwordx2 v[27:28], v[17:18], off
	global_load_dwordx2 v[33:34], v[19:20], off
	;; [unrolled: 1-line block ×8, first 2 shown]
	s_cbranch_execz .LBB0_5
	s_branch .LBB0_10
.LBB0_4:
                                        ; implicit-def: $vgpr1
                                        ; implicit-def: $vgpr5
                                        ; implicit-def: $vgpr17
                                        ; implicit-def: $vgpr31
                                        ; implicit-def: $vgpr19
                                        ; implicit-def: $vgpr29
                                        ; implicit-def: $vgpr23
                                        ; implicit-def: $vgpr21
                                        ; implicit-def: $vgpr33
                                        ; implicit-def: $vgpr27
                                        ; implicit-def: $vgpr7
                                        ; implicit-def: $vgpr11
                                        ; implicit-def: $vgpr9
                                        ; implicit-def: $vgpr3
                                        ; implicit-def: $vgpr15
                                        ; implicit-def: $vgpr13
                                        ; implicit-def: $vgpr80
                                        ; implicit-def: $vgpr79
                                        ; implicit-def: $vgpr81
                                        ; implicit-def: $vgpr42
                                        ; implicit-def: $vgpr47
                                        ; implicit-def: $vgpr48
                                        ; implicit-def: $vgpr49
	s_andn2_b32 vcc_lo, exec_lo, s7
	s_cbranch_vccnz .LBB0_10
.LBB0_5:
	s_mov_b32 s0, exec_lo
                                        ; implicit-def: $vgpr80
                                        ; implicit-def: $vgpr79
                                        ; implicit-def: $vgpr81
                                        ; implicit-def: $vgpr42
                                        ; implicit-def: $vgpr47
                                        ; implicit-def: $vgpr48
                                        ; implicit-def: $vgpr49
	v_cmpx_le_u64_e64 s[14:15], v[25:26]
	s_xor_b32 s0, exec_lo, s0
; %bb.6:
	v_add_nc_u32_e32 v80, 5, v78
	v_add_nc_u32_e32 v79, 10, v78
	;; [unrolled: 1-line block ×7, first 2 shown]
                                        ; implicit-def: $vgpr35
                                        ; implicit-def: $vgpr36
                                        ; implicit-def: $vgpr37
                                        ; implicit-def: $vgpr38
                                        ; implicit-def: $vgpr39
                                        ; implicit-def: $vgpr40
                                        ; implicit-def: $vgpr41
; %bb.7:
	s_or_saveexec_b32 s0, s0
                                        ; implicit-def: $vgpr1
                                        ; implicit-def: $vgpr5
                                        ; implicit-def: $vgpr17
                                        ; implicit-def: $vgpr31
                                        ; implicit-def: $vgpr19
                                        ; implicit-def: $vgpr29
                                        ; implicit-def: $vgpr23
                                        ; implicit-def: $vgpr21
                                        ; implicit-def: $vgpr33
                                        ; implicit-def: $vgpr27
                                        ; implicit-def: $vgpr7
                                        ; implicit-def: $vgpr11
                                        ; implicit-def: $vgpr9
                                        ; implicit-def: $vgpr3
                                        ; implicit-def: $vgpr15
                                        ; implicit-def: $vgpr13
	s_xor_b32 exec_lo, exec_lo, s0
	s_cbranch_execz .LBB0_9
; %bb.8:
	s_waitcnt vmcnt(12)
	v_mad_u64_u32 v[1:2], null, s8, v77, 0
	v_mad_u64_u32 v[3:4], null, s12, v78, 0
	v_or_b32_e32 v13, 40, v78
	s_waitcnt vmcnt(8)
	v_mad_u64_u32 v[5:6], null, s12, v35, 0
	v_add_nc_u32_e32 v14, 45, v78
	s_lshl_b64 s[6:7], s[2:3], 3
	v_add_nc_u32_e32 v15, 50, v78
	v_mad_u64_u32 v[7:8], null, s9, v77, v[2:3]
	v_mad_u64_u32 v[8:9], null, s12, v13, 0
	;; [unrolled: 1-line block ×3, first 2 shown]
	v_mov_b32_e32 v4, v6
	s_add_u32 s6, s16, s6
	v_mov_b32_e32 v2, v7
	s_addc_u32 s7, s17, s7
	v_mov_b32_e32 v6, v9
	v_mad_u64_u32 v[11:12], null, s13, v35, v[4:5]
	v_mov_b32_e32 v4, v10
	v_lshlrev_b64 v[1:2], 3, v[1:2]
	v_mad_u64_u32 v[6:7], null, s13, v13, v[6:7]
	v_mad_u64_u32 v[12:13], null, s12, v14, 0
	v_lshlrev_b64 v[3:4], 3, v[3:4]
	v_add_co_u32 v52, vcc_lo, s6, v1
	v_add_co_ci_u32_e32 v53, vcc_lo, s7, v2, vcc_lo
	v_mov_b32_e32 v9, v6
	v_mov_b32_e32 v6, v11
	v_add_co_u32 v1, vcc_lo, v52, v3
	v_add_co_ci_u32_e32 v2, vcc_lo, v53, v4, vcc_lo
	v_lshlrev_b64 v[4:5], 3, v[5:6]
	v_mov_b32_e32 v3, v13
	v_lshlrev_b64 v[7:8], 3, v[8:9]
	s_waitcnt vmcnt(4)
	v_mad_u64_u32 v[17:18], null, s12, v15, 0
	v_add_nc_u32_e32 v27, 55, v78
	v_mad_u64_u32 v[9:10], null, s13, v14, v[3:4]
	v_mad_u64_u32 v[10:11], null, s12, v36, 0
	v_add_co_u32 v6, vcc_lo, v52, v7
	v_add_co_ci_u32_e32 v7, vcc_lo, v53, v8, vcc_lo
	v_mov_b32_e32 v13, v9
	v_add_co_u32 v4, vcc_lo, v52, v4
	v_mov_b32_e32 v3, v11
	v_mov_b32_e32 v8, v18
	v_lshlrev_b64 v[11:12], 3, v[12:13]
	v_mad_u64_u32 v[21:22], null, s12, v37, 0
	v_mad_u64_u32 v[13:14], null, s13, v36, v[3:4]
	;; [unrolled: 1-line block ×3, first 2 shown]
	v_add_co_ci_u32_e32 v5, vcc_lo, v53, v5, vcc_lo
	s_waitcnt vmcnt(1)
	v_add_co_u32 v19, vcc_lo, v52, v11
	v_mov_b32_e32 v11, v13
	v_add_co_ci_u32_e32 v20, vcc_lo, v53, v12, vcc_lo
	v_mad_u64_u32 v[23:24], null, s12, v27, 0
	v_mov_b32_e32 v18, v8
	s_clause 0x3
	global_load_dwordx2 v[13:14], v[1:2], off
	global_load_dwordx2 v[15:16], v[6:7], off
	;; [unrolled: 1-line block ×4, first 2 shown]
	v_lshlrev_b64 v[6:7], 3, v[10:11]
	v_mov_b32_e32 v5, v22
	v_add_nc_u32_e32 v34, 0x46, v78
	v_lshlrev_b64 v[9:10], 3, v[17:18]
	v_mov_b32_e32 v8, v24
	v_mov_b32_e32 v80, v35
	v_mad_u64_u32 v[11:12], null, s13, v37, v[5:6]
	v_add_co_u32 v5, vcc_lo, v52, v6
	v_mad_u64_u32 v[17:18], null, s13, v27, v[8:9]
	v_mad_u64_u32 v[18:19], null, s12, v38, 0
	v_mov_b32_e32 v22, v11
	v_add_co_ci_u32_e32 v6, vcc_lo, v53, v7, vcc_lo
	v_add_co_u32 v7, vcc_lo, v52, v9
	v_add_co_ci_u32_e32 v8, vcc_lo, v53, v10, vcc_lo
	v_lshlrev_b64 v[10:11], 3, v[21:22]
	v_mov_b32_e32 v24, v17
	v_mov_b32_e32 v9, v19
	v_add_nc_u32_e32 v12, 60, v78
	s_waitcnt vmcnt(4)
	v_mad_u64_u32 v[32:33], null, s12, v34, 0
	v_lshlrev_b64 v[19:20], 3, v[23:24]
	v_mad_u64_u32 v[21:22], null, s13, v38, v[9:10]
	v_mad_u64_u32 v[22:23], null, s12, v12, 0
	v_add_co_u32 v27, vcc_lo, v52, v10
	v_add_co_ci_u32_e32 v28, vcc_lo, v53, v11, vcc_lo
	v_add_co_u32 v29, vcc_lo, v52, v19
	v_add_co_ci_u32_e32 v30, vcc_lo, v53, v20, vcc_lo
	v_mov_b32_e32 v19, v21
	v_mad_u64_u32 v[20:21], null, s12, v39, 0
	v_mov_b32_e32 v9, v23
	v_mov_b32_e32 v79, v36
	v_lshlrev_b64 v[17:18], 3, v[18:19]
	v_mov_b32_e32 v81, v37
	v_mad_u64_u32 v[23:24], null, s13, v12, v[9:10]
	v_add_nc_u32_e32 v24, 0x41, v78
	v_mov_b32_e32 v19, v21
	s_clause 0x3
	global_load_dwordx2 v[9:10], v[5:6], off
	global_load_dwordx2 v[11:12], v[7:8], off
	;; [unrolled: 1-line block ×4, first 2 shown]
	v_add_co_u32 v17, vcc_lo, v52, v17
	v_mad_u64_u32 v[27:28], null, s12, v24, 0
	v_mad_u64_u32 v[29:30], null, s13, v39, v[19:20]
	;; [unrolled: 1-line block ×3, first 2 shown]
	v_lshlrev_b64 v[22:23], 3, v[22:23]
	v_add_co_ci_u32_e32 v18, vcc_lo, v53, v18, vcc_lo
	v_mov_b32_e32 v19, v28
	v_mov_b32_e32 v21, v29
	v_add_co_u32 v22, vcc_lo, v52, v22
	v_mad_u64_u32 v[28:29], null, s13, v24, v[19:20]
	v_lshlrev_b64 v[20:21], 3, v[20:21]
	v_mov_b32_e32 v19, v31
	v_add_nc_u32_e32 v24, 0x4b, v78
	v_add_co_ci_u32_e32 v23, vcc_lo, v53, v23, vcc_lo
	v_mad_u64_u32 v[42:43], null, s13, v40, v[19:20]
	v_mad_u64_u32 v[43:44], null, s12, v41, 0
	v_mov_b32_e32 v19, v33
	v_mad_u64_u32 v[45:46], null, s12, v24, 0
	v_lshlrev_b64 v[27:28], 3, v[27:28]
	v_mov_b32_e32 v31, v42
	v_mad_u64_u32 v[33:34], null, s13, v34, v[19:20]
	v_add_co_u32 v19, vcc_lo, v52, v20
	v_add_co_ci_u32_e32 v20, vcc_lo, v53, v21, vcc_lo
	v_mov_b32_e32 v21, v44
	v_mad_u64_u32 v[47:48], null, s13, v41, v[21:22]
	v_mov_b32_e32 v21, v46
	v_add_co_u32 v48, vcc_lo, v52, v27
	v_add_co_ci_u32_e32 v49, vcc_lo, v53, v28, vcc_lo
	v_lshlrev_b64 v[27:28], 3, v[30:31]
	v_mad_u64_u32 v[29:30], null, s13, v24, v[21:22]
	v_lshlrev_b64 v[30:31], 3, v[32:33]
	v_mov_b32_e32 v44, v47
	v_mov_b32_e32 v47, v39
	v_add_co_u32 v50, vcc_lo, v52, v27
	v_add_co_ci_u32_e32 v51, vcc_lo, v53, v28, vcc_lo
	v_mov_b32_e32 v46, v29
	v_lshlrev_b64 v[27:28], 3, v[43:44]
	v_add_co_u32 v29, vcc_lo, v52, v30
	v_add_co_ci_u32_e32 v30, vcc_lo, v53, v31, vcc_lo
	v_lshlrev_b64 v[31:32], 3, v[45:46]
	v_add_co_u32 v42, vcc_lo, v52, v27
	v_add_co_ci_u32_e32 v43, vcc_lo, v53, v28, vcc_lo
	v_add_co_u32 v31, vcc_lo, v52, v31
	v_add_co_ci_u32_e32 v32, vcc_lo, v53, v32, vcc_lo
	s_clause 0x7
	global_load_dwordx2 v[27:28], v[17:18], off
	global_load_dwordx2 v[33:34], v[22:23], off
	;; [unrolled: 1-line block ×8, first 2 shown]
	v_mov_b32_e32 v42, v38
	v_mov_b32_e32 v48, v40
	;; [unrolled: 1-line block ×3, first 2 shown]
.LBB0_9:
	s_or_b32 exec_lo, exec_lo, s0
.LBB0_10:
	s_waitcnt vmcnt(14)
	v_sub_f32_e32 v39, v14, v16
	v_sub_f32_e32 v15, v13, v15
	s_waitcnt vmcnt(12)
	v_sub_f32_e32 v1, v3, v1
	s_waitcnt vmcnt(4)
	v_sub_f32_e32 v16, v21, v17
	v_mul_i32_i24_e32 v35, 0x198, v80
	v_fma_f32 v40, v14, 2.0, -v39
	v_sub_f32_e32 v14, v27, v33
	v_mul_u32_u24_e32 v33, 0x198, v78
	v_sub_f32_e32 v11, v9, v11
	v_mul_i32_i24_e32 v36, 0x198, v79
	v_fma_f32 v13, v13, 2.0, -v15
	v_fma_f32 v17, v27, 2.0, -v14
	v_lshlrev_b32_e32 v27, 2, v77
	v_fma_f32 v3, v3, 2.0, -v1
	v_fma_f32 v9, v9, 2.0, -v11
	v_sub_f32_e32 v5, v7, v5
	s_waitcnt vmcnt(2)
	v_sub_f32_e32 v29, v23, v29
	v_add3_u32 v33, 0, v33, v27
	v_add3_u32 v41, 0, v35, v27
	;; [unrolled: 1-line block ×3, first 2 shown]
	v_fma_f32 v7, v7, 2.0, -v5
	s_waitcnt vmcnt(0)
	v_sub_f32_e32 v31, v19, v31
	ds_write2_b32 v33, v13, v15 offset1:51
	ds_write2_b32 v41, v3, v1 offset1:51
	;; [unrolled: 1-line block ×3, first 2 shown]
	v_mul_i32_i24_e32 v1, 0x198, v42
	v_mul_i32_i24_e32 v13, 0x198, v81
	;; [unrolled: 1-line block ×5, first 2 shown]
	v_add3_u32 v52, 0, v1, v27
	v_mul_u32_u24_e32 v1, 0xcc, v78
	v_add3_u32 v51, 0, v13, v27
	v_fma_f32 v21, v21, 2.0, -v16
	v_add3_u32 v53, 0, v3, v27
	v_fma_f32 v23, v23, 2.0, -v29
	v_add3_u32 v54, 0, v9, v27
	v_add3_u32 v43, 0, v1, v27
	v_mul_i32_i24_e32 v1, 0xcc, v80
	v_fma_f32 v15, v19, 2.0, -v31
	ds_write2_b32 v51, v7, v5 offset1:51
	v_add3_u32 v55, 0, v11, v27
	v_mul_i32_i24_e32 v3, 0xcc, v79
	v_mul_i32_i24_e32 v5, 0xcc, v81
	v_sub_f32_e32 v2, v4, v2
	v_sub_f32_e32 v12, v10, v12
	;; [unrolled: 1-line block ×3, first 2 shown]
	ds_write2_b32 v52, v17, v14 offset1:51
	ds_write2_b32 v53, v21, v16 offset1:51
	;; [unrolled: 1-line block ×4, first 2 shown]
	v_sub_f32_e32 v23, v28, v34
	v_add3_u32 v45, 0, v1, v27
	v_mul_i32_i24_e32 v1, 0xcc, v42
	v_sub_f32_e32 v18, v22, v18
	v_add3_u32 v46, 0, v3, v27
	v_add3_u32 v44, 0, v5, v27
	v_mul_i32_i24_e32 v3, 0xcc, v47
	v_mul_i32_i24_e32 v5, 0xcc, v48
	;; [unrolled: 1-line block ×3, first 2 shown]
	v_fma_f32 v4, v4, 2.0, -v2
	v_fma_f32 v10, v10, 2.0, -v12
	;; [unrolled: 1-line block ×4, first 2 shown]
	v_add3_u32 v29, 0, v1, v27
	v_fma_f32 v22, v22, 2.0, -v18
	s_waitcnt lgkmcnt(0)
	s_barrier
	buffer_gl0_inv
	v_add_nc_u32_e32 v21, 0x1fe0, v43
	v_add_nc_u32_e32 v56, 0x27d8, v43
	;; [unrolled: 1-line block ×3, first 2 shown]
	v_add3_u32 v58, 0, v3, v27
	v_add3_u32 v59, 0, v5, v27
	;; [unrolled: 1-line block ×3, first 2 shown]
	v_add_nc_u32_e32 v61, 0x37c8, v43
	ds_read_b32 v19, v43
	ds_read_b32 v1, v45
	;; [unrolled: 1-line block ×8, first 2 shown]
	ds_read2_b32 v[37:38], v21 offset1:255
	ds_read2_b32 v[35:36], v56 offset1:255
	;; [unrolled: 1-line block ×4, first 2 shown]
	s_waitcnt lgkmcnt(0)
	s_barrier
	buffer_gl0_inv
	ds_write2_b32 v33, v40, v39 offset1:51
	v_sub_f32_e32 v30, v24, v30
	ds_write2_b32 v41, v4, v2 offset1:51
	ds_write2_b32 v50, v10, v12 offset1:51
	;; [unrolled: 1-line block ×5, first 2 shown]
	v_and_b32_e32 v2, 1, v78
	v_sub_f32_e32 v31, v20, v32
	v_and_b32_e32 v4, 1, v80
	v_fma_f32 v24, v24, 2.0, -v30
	v_and_b32_e32 v8, 1, v81
	v_lshlrev_b32_e32 v6, 3, v2
	v_fma_f32 v20, v20, 2.0, -v31
	v_lshlrev_b32_e32 v10, 3, v4
	v_and_b32_e32 v12, 1, v47
	ds_write2_b32 v54, v24, v30 offset1:51
	ds_write2_b32 v55, v20, v31 offset1:51
	s_waitcnt lgkmcnt(0)
	s_barrier
	buffer_gl0_inv
	v_lshlrev_b32_e32 v18, 3, v8
	s_clause 0x1
	global_load_dwordx2 v[22:23], v6, s[18:19]
	global_load_dwordx2 v[30:31], v10, s[18:19]
	v_and_b32_e32 v10, 1, v49
	v_lshlrev_b32_e32 v6, 3, v12
	s_clause 0x1
	global_load_dwordx2 v[32:33], v18, s[18:19]
	global_load_dwordx2 v[39:40], v6, s[18:19]
	v_lshlrev_b32_e32 v6, 3, v10
	v_lshlrev_b32_e32 v18, 1, v80
	;; [unrolled: 1-line block ×5, first 2 shown]
	global_load_dwordx2 v[50:51], v6, s[18:19]
	v_lshlrev_b32_e32 v6, 1, v78
	v_lshlrev_b32_e32 v41, 1, v48
	;; [unrolled: 1-line block ×3, first 2 shown]
	v_and_b32_e32 v47, 3, v78
	v_and_or_b32 v4, 0x1ffc, v18, v4
	v_and_or_b32 v18, 0x1ffc, v20, v2
	;; [unrolled: 1-line block ×6, first 2 shown]
	v_mul_u32_u24_e32 v62, 3, v47
	v_mul_u32_u24_e32 v63, 0xcc, v20
	ds_read2_b32 v[20:21], v21 offset1:255
	ds_read2_b32 v[41:42], v56 offset1:255
	;; [unrolled: 1-line block ×4, first 2 shown]
	ds_read_b32 v56, v43
	ds_read_b32 v57, v45
	;; [unrolled: 1-line block ×8, first 2 shown]
	v_mul_u32_u24_e32 v18, 0xcc, v18
	v_lshlrev_b32_e32 v24, 1, v81
	v_and_b32_e32 v49, 3, v80
	v_and_b32_e32 v54, 3, v79
	;; [unrolled: 1-line block ×3, first 2 shown]
	v_add3_u32 v66, 0, v18, v27
	v_and_or_b32 v8, 0x1ffc, v24, v8
	v_and_or_b32 v12, 0x1ffc, v34, v12
	v_mul_u32_u24_e32 v6, 0xcc, v6
	v_mul_u32_u24_e32 v4, 0xcc, v4
	;; [unrolled: 1-line block ×9, first 2 shown]
	v_add3_u32 v6, 0, v6, v27
	v_add3_u32 v4, 0, v4, v27
	v_lshlrev_b32_e32 v24, 3, v24
	v_lshlrev_b32_e32 v28, 3, v28
	v_add3_u32 v8, 0, v8, v27
	v_add_nc_u32_e32 v70, 0x1be4, v43
	v_lshlrev_b32_e32 v34, 3, v34
	v_add3_u32 v63, 0, v63, v27
	v_add_nc_u32_e32 v71, 0x2bd4, v43
	s_waitcnt vmcnt(0) lgkmcnt(0)
	s_barrier
	buffer_gl0_inv
	v_add3_u32 v12, 0, v12, v27
	v_add3_u32 v2, 0, v2, v27
	;; [unrolled: 1-line block ×3, first 2 shown]
	v_add_nc_u32_e32 v72, 0x13ec, v43
	v_add_nc_u32_e32 v73, 0x23dc, v43
	;; [unrolled: 1-line block ×3, first 2 shown]
	v_lshlrev_b32_e32 v89, 2, v80
	v_lshlrev_b32_e32 v96, 2, v81
	v_cmp_gt_u32_e64 s0, 51, v0
	v_mul_f32_e32 v18, v20, v23
	v_mul_f32_e32 v67, v21, v31
	;; [unrolled: 1-line block ×10, first 2 shown]
	v_fmac_f32_e32 v18, v37, v22
	v_mul_f32_e32 v33, v36, v33
	v_mul_f32_e32 v84, v15, v23
	;; [unrolled: 1-line block ×4, first 2 shown]
	v_fmac_f32_e32 v67, v38, v30
	v_fma_f32 v20, v20, v22, -v69
	v_fmac_f32_e32 v74, v35, v22
	v_mul_f32_e32 v40, v16, v40
	v_mul_f32_e32 v51, v14, v51
	v_fmac_f32_e32 v75, v36, v32
	v_fma_f32 v21, v21, v30, -v31
	v_fmac_f32_e32 v82, v15, v22
	v_fmac_f32_e32 v83, v16, v39
	v_fma_f32 v31, v41, v22, -v76
	v_fmac_f32_e32 v85, v13, v22
	v_fmac_f32_e32 v86, v14, v50
	v_sub_f32_e32 v18, v19, v18
	v_fma_f32 v30, v42, v32, -v33
	v_fma_f32 v13, v52, v22, -v23
	v_sub_f32_e32 v23, v56, v20
	v_sub_f32_e32 v20, v1, v67
	v_fma_f32 v16, v47, v22, -v84
	v_sub_f32_e32 v22, v3, v74
	v_fma_f32 v15, v48, v39, -v40
	v_fma_f32 v14, v53, v50, -v51
	v_sub_f32_e32 v32, v5, v75
	v_sub_f32_e32 v33, v7, v82
	;; [unrolled: 1-line block ×7, first 2 shown]
	v_fma_f32 v19, v19, 2.0, -v18
	v_sub_f32_e32 v30, v64, v30
	v_fma_f32 v1, v1, 2.0, -v20
	v_sub_f32_e32 v16, v65, v16
	;; [unrolled: 2-line block ×3, first 2 shown]
	v_sub_f32_e32 v13, v59, v13
	v_sub_f32_e32 v14, v60, v14
	v_fma_f32 v42, v56, 2.0, -v23
	v_fma_f32 v5, v5, 2.0, -v32
	;; [unrolled: 1-line block ×8, first 2 shown]
	ds_write2_b32 v6, v19, v18 offset1:102
	ds_write2_b32 v4, v1, v20 offset1:102
	;; [unrolled: 1-line block ×8, first 2 shown]
	v_lshlrev_b32_e32 v9, 3, v62
	v_fma_f32 v50, v64, 2.0, -v30
	v_fma_f32 v51, v65, 2.0, -v16
	;; [unrolled: 1-line block ×5, first 2 shown]
	s_waitcnt lgkmcnt(0)
	s_barrier
	buffer_gl0_inv
	ds_read_b32 v74, v43
	ds_read2_b32 v[21:22], v70 offset1:255
	ds_read2_b32 v[17:18], v71 offset1:255
	;; [unrolled: 1-line block ×5, first 2 shown]
	ds_read_b32 v75, v29
	ds_read_b32 v76, v44
	;; [unrolled: 1-line block ×4, first 2 shown]
	ds_read_b32 v85, v43 offset:15300
	s_waitcnt lgkmcnt(0)
	s_barrier
	buffer_gl0_inv
	ds_write2_b32 v6, v42, v23 offset1:102
	ds_write2_b32 v4, v47, v41 offset1:102
	;; [unrolled: 1-line block ×8, first 2 shown]
	s_waitcnt lgkmcnt(0)
	s_barrier
	buffer_gl0_inv
	s_clause 0x7
	global_load_dwordx2 v[60:61], v24, s[18:19] offset:32
	global_load_dwordx2 v[62:63], v28, s[18:19] offset:32
	;; [unrolled: 1-line block ×4, first 2 shown]
	global_load_dwordx4 v[5:8], v24, s[18:19] offset:16
	global_load_dwordx4 v[1:4], v28, s[18:19] offset:16
	;; [unrolled: 1-line block ×4, first 2 shown]
	v_lshlrev_b32_e32 v47, 2, v78
	v_lshlrev_b32_e32 v84, 2, v79
	v_and_or_b32 v24, 0x3ff0, v89, v49
	v_and_or_b32 v30, 0x3ff0, v96, v55
	ds_read2_b32 v[68:69], v68 offset1:255
	v_or_b32_e32 v23, v47, v78
	v_and_or_b32 v28, 0x3ff0, v84, v54
	v_mul_u32_u24_e32 v24, 0xcc, v24
	v_mul_u32_u24_e32 v30, 0xcc, v30
	v_add_nc_u32_e32 v35, 0xcc0, v43
	v_and_b32_e32 v23, 19, v23
	v_mul_u32_u24_e32 v28, 0xcc, v28
	v_add3_u32 v50, 0, v24, v27
	v_add3_u32 v42, 0, v30, v27
	ds_read_b32 v30, v43 offset:15300
	v_mul_u32_u24_e32 v23, 0xcc, v23
	v_add3_u32 v41, 0, v28, v27
	v_add_nc_u32_e32 v51, 0x600, v50
	v_add_nc_u32_e32 v36, 0x1980, v43
	;; [unrolled: 1-line block ×3, first 2 shown]
	v_add3_u32 v54, 0, v23, v27
	ds_read2_b32 v[23:24], v71 offset1:255
	ds_read2_b32 v[27:28], v72 offset1:255
	ds_read_b32 v56, v44
	ds_read_b32 v29, v29
	ds_read2_b32 v[33:34], v70 offset1:255
	ds_read_b32 v57, v46
	ds_read_b32 v58, v45
	ds_read2_b32 v[31:32], v73 offset1:255
	ds_read_b32 v59, v43
	s_waitcnt vmcnt(0) lgkmcnt(0)
	v_add_nc_u32_e32 v55, 0x600, v54
	s_barrier
	buffer_gl0_inv
	v_add_nc_u32_e32 v52, 0x600, v41
	v_add_nc_u32_e32 v49, 0x3300, v43
	;; [unrolled: 1-line block ×3, first 2 shown]
	v_mul_f32_e32 v71, v69, v63
	v_mul_f32_e32 v72, v30, v65
	;; [unrolled: 1-line block ×18, first 2 shown]
	v_fmac_f32_e32 v73, v18, v66
	v_fmac_f32_e32 v88, v75, v13
	;; [unrolled: 1-line block ×3, first 2 shown]
	v_mul_f32_e32 v63, v40, v63
	v_mul_f32_e32 v2, v38, v2
	v_fmac_f32_e32 v70, v39, v60
	v_fmac_f32_e32 v86, v37, v5
	v_fmac_f32_e32 v92, v19, v7
	v_fmac_f32_e32 v71, v40, v62
	v_fmac_f32_e32 v87, v38, v1
	v_fmac_f32_e32 v93, v20, v3
	v_fmac_f32_e32 v72, v85, v64
	v_fmac_f32_e32 v94, v17, v11
	v_fmac_f32_e32 v95, v21, v9
	v_fma_f32 v39, v68, v60, -v61
	v_fma_f32 v30, v30, v64, -v65
	;; [unrolled: 1-line block ×6, first 2 shown]
	v_sub_f32_e32 v6, v74, v91
	v_sub_f32_e32 v9, v88, v73
	v_fma_f32 v40, v69, v62, -v63
	v_fma_f32 v14, v28, v1, -v2
	v_sub_f32_e32 v27, v83, v92
	v_sub_f32_e32 v1, v86, v70
	v_sub_f32_e32 v28, v82, v93
	v_sub_f32_e32 v2, v87, v71
	v_sub_f32_e32 v29, v76, v94
	v_sub_f32_e32 v5, v95, v72
	v_sub_f32_e32 v60, v24, v60
	v_sub_f32_e32 v13, v10, v30
	v_fma_f32 v30, v74, 2.0, -v6
	v_fma_f32 v37, v88, 2.0, -v9
	v_sub_f32_e32 v33, v18, v39
	v_sub_f32_e32 v21, v14, v40
	v_fma_f32 v39, v83, 2.0, -v27
	v_fma_f32 v40, v86, 2.0, -v1
	;; [unrolled: 1-line block ×6, first 2 shown]
	v_add_f32_e32 v38, v6, v60
	v_sub_f32_e32 v37, v30, v37
	v_add_f32_e32 v61, v27, v33
	v_sub_f32_e32 v40, v39, v40
	;; [unrolled: 2-line block ×4, first 2 shown]
	v_fma_f32 v6, v6, 2.0, -v38
	v_fma_f32 v30, v30, 2.0, -v37
	v_fma_f32 v27, v27, 2.0, -v61
	v_fma_f32 v39, v39, 2.0, -v40
	v_fma_f32 v28, v28, 2.0, -v64
	ds_write2_b32 v55, v37, v38 offset0:24 offset1:228
	v_fma_f32 v37, v62, 2.0, -v63
	v_fma_f32 v29, v29, 2.0, -v82
	;; [unrolled: 1-line block ×3, first 2 shown]
	ds_write2_b32 v54, v30, v6 offset1:204
	ds_write2_b32 v50, v39, v27 offset1:204
	ds_write2_b32 v51, v40, v61 offset0:24 offset1:228
	ds_write2_b32 v41, v37, v28 offset1:204
	ds_write2_b32 v52, v63, v64 offset0:24 offset1:228
	;; [unrolled: 2-line block ×3, first 2 shown]
	s_waitcnt lgkmcnt(0)
	s_barrier
	buffer_gl0_inv
	ds_read_b32 v99, v43
	ds_read_b32 v105, v43 offset:5304
	ds_read_b32 v104, v43 offset:8568
	;; [unrolled: 1-line block ×3, first 2 shown]
	ds_read_b32 v94, v46
	ds_read_b32 v95, v45
	ds_read_b32 v102, v43 offset:15096
	ds_read2_b32 v[39:40], v35 offset1:255
	ds_read2_b32 v[37:38], v36 offset1:255
	;; [unrolled: 1-line block ×4, first 2 shown]
	v_lshl_add_u32 v6, v77, 2, 0
                                        ; implicit-def: $vgpr85
                                        ; implicit-def: $vgpr86
                                        ; implicit-def: $vgpr87
                                        ; implicit-def: $vgpr88
	s_and_saveexec_b32 s6, s0
	s_cbranch_execz .LBB0_12
; %bb.11:
	ds_read_b32 v82, v44
	ds_read_b32 v88, v6 offset:6324
	ds_read_b32 v87, v6 offset:9588
	;; [unrolled: 1-line block ×4, first 2 shown]
.LBB0_12:
	s_or_b32 exec_lo, exec_lo, s6
	v_mul_f32_e32 v8, v19, v8
	v_mul_f32_e32 v16, v22, v16
	;; [unrolled: 1-line block ×4, first 2 shown]
	v_fma_f32 v14, v14, 2.0, -v21
	v_fma_f32 v7, v31, v7, -v8
	v_fma_f32 v15, v34, v15, -v16
	v_fma_f32 v3, v32, v3, -v4
	v_fma_f32 v4, v23, v11, -v12
	v_fma_f32 v16, v18, 2.0, -v33
	v_sub_f32_e32 v7, v58, v7
	v_sub_f32_e32 v15, v59, v15
	;; [unrolled: 1-line block ×3, first 2 shown]
	v_fma_f32 v8, v24, 2.0, -v60
	v_sub_f32_e32 v4, v56, v4
	v_fma_f32 v12, v58, 2.0, -v7
	v_fma_f32 v11, v59, 2.0, -v15
	;; [unrolled: 1-line block ×3, first 2 shown]
	v_sub_f32_e32 v9, v15, v9
	v_fma_f32 v17, v56, 2.0, -v4
	v_sub_f32_e32 v13, v12, v16
	v_fma_f32 v16, v57, 2.0, -v3
	v_sub_f32_e32 v8, v11, v8
	v_sub_f32_e32 v1, v7, v1
	;; [unrolled: 1-line block ×3, first 2 shown]
	v_fma_f32 v15, v15, 2.0, -v9
	v_sub_f32_e32 v14, v16, v14
	v_fma_f32 v11, v11, 2.0, -v8
	v_sub_f32_e32 v10, v17, v10
	v_sub_f32_e32 v83, v4, v5
	v_fma_f32 v12, v12, 2.0, -v13
	v_fma_f32 v5, v7, 2.0, -v1
	;; [unrolled: 1-line block ×6, first 2 shown]
	s_waitcnt lgkmcnt(0)
	s_barrier
	buffer_gl0_inv
	ds_write2_b32 v54, v11, v15 offset1:204
	ds_write2_b32 v55, v8, v9 offset0:24 offset1:228
	ds_write2_b32 v50, v12, v5 offset1:204
	ds_write2_b32 v51, v13, v1 offset0:24 offset1:228
	;; [unrolled: 2-line block ×4, first 2 shown]
	s_waitcnt lgkmcnt(0)
	s_barrier
	buffer_gl0_inv
	ds_read2_b32 v[41:42], v35 offset1:255
	ds_read2_b32 v[35:36], v36 offset1:255
	;; [unrolled: 1-line block ×4, first 2 shown]
	ds_read_b32 v97, v46
	ds_read_b32 v100, v43
	ds_read_b32 v109, v43 offset:5304
	ds_read_b32 v108, v43 offset:8568
	ds_read_b32 v107, v43 offset:11832
	ds_read_b32 v98, v45
	ds_read_b32 v106, v43 offset:15096
                                        ; implicit-def: $vgpr91
                                        ; implicit-def: $vgpr90
                                        ; implicit-def: $vgpr92
                                        ; implicit-def: $vgpr93
	s_and_saveexec_b32 s6, s0
	s_cbranch_execz .LBB0_14
; %bb.13:
	ds_read_b32 v83, v44
	ds_read_b32 v93, v6 offset:6324
	ds_read_b32 v92, v6 offset:9588
	;; [unrolled: 1-line block ×4, first 2 shown]
.LBB0_14:
	s_or_b32 exec_lo, exec_lo, s6
	v_and_b32_e32 v1, 28, v47
	v_and_b32_e32 v2, 60, v89
	v_or_b32_e32 v22, 16, v78
	v_or_b32_e32 v23, 32, v78
	v_or_b32_e32 v24, 48, v78
	v_lshlrev_b32_e32 v1, 3, v1
	v_lshlrev_b32_e32 v2, 3, v2
	s_load_dwordx2 s[4:5], s[4:5], 0x8
	v_mul_lo_u32 v71, v25, v22
	v_mul_lo_u32 v75, v25, v23
	s_clause 0x3
	global_load_dwordx4 v[17:20], v1, s[18:19] offset:112
	global_load_dwordx4 v[13:16], v2, s[18:19] offset:112
	;; [unrolled: 1-line block ×4, first 2 shown]
	v_and_b32_e32 v1, 60, v84
	v_mul_lo_u32 v72, v25, v24
	v_mul_lo_u32 v43, v25, v78
	v_or_b32_e32 v44, 64, v78
	v_and_b32_e32 v112, 15, v80
	v_lshlrev_b32_e32 v21, 3, v1
	v_mov_b32_e32 v101, 3
	v_bfe_u32 v48, v71, 8, 8
	v_mul_lo_u32 v110, v25, v44
	v_mul_lo_u32 v111, v25, v112
	s_clause 0x1
	global_load_dwordx4 v[1:4], v21, s[18:19] offset:112
	global_load_dwordx4 v[21:24], v21, s[18:19] offset:128
	v_bfe_u32 v45, v43, 8, 8
	v_or_b32_e32 v44, 16, v112
	v_or_b32_e32 v47, 32, v112
	v_lshlrev_b32_sdwa v46, v101, v43 dst_sel:DWORD dst_unused:UNUSED_PAD src0_sel:DWORD src1_sel:BYTE_0
	v_lshlrev_b32_sdwa v49, v101, v71 dst_sel:DWORD dst_unused:UNUSED_PAD src0_sel:DWORD src1_sel:BYTE_0
	v_lshl_or_b32 v45, v45, 3, 0x800
	v_lshl_or_b32 v50, v48, 3, 0x800
	v_bfe_u32 v51, v75, 8, 8
	v_bfe_u32 v54, v72, 8, 8
	v_mul_lo_u32 v113, v25, v44
	v_bfe_u32 v76, v43, 16, 8
	s_waitcnt lgkmcnt(0)
	s_clause 0x1
	global_load_dwordx2 v[43:44], v46, s[4:5]
	global_load_dwordx2 v[45:46], v45, s[4:5]
	v_mul_lo_u32 v115, v25, v47
	s_clause 0x1
	global_load_dwordx2 v[47:48], v49, s[4:5]
	global_load_dwordx2 v[49:50], v50, s[4:5]
	v_lshlrev_b32_sdwa v52, v101, v75 dst_sel:DWORD dst_unused:UNUSED_PAD src0_sel:DWORD src1_sel:BYTE_0
	v_lshlrev_b32_sdwa v57, v101, v72 dst_sel:DWORD dst_unused:UNUSED_PAD src0_sel:DWORD src1_sel:BYTE_0
	v_lshl_or_b32 v53, v51, 3, 0x800
	v_bfe_u32 v59, v110, 8, 8
	v_lshl_or_b32 v58, v54, 3, 0x800
	v_bfe_u32 v61, v111, 8, 8
	s_clause 0x1
	global_load_dwordx2 v[51:52], v52, s[4:5]
	global_load_dwordx2 v[55:56], v53, s[4:5]
	v_lshlrev_b32_sdwa v60, v101, v110 dst_sel:DWORD dst_unused:UNUSED_PAD src0_sel:DWORD src1_sel:BYTE_0
	v_lshlrev_b32_sdwa v63, v101, v111 dst_sel:DWORD dst_unused:UNUSED_PAD src0_sel:DWORD src1_sel:BYTE_0
	s_clause 0x1
	global_load_dwordx2 v[53:54], v57, s[4:5]
	global_load_dwordx2 v[57:58], v58, s[4:5]
	v_lshl_or_b32 v62, v59, 3, 0x800
	v_lshl_or_b32 v65, v61, 3, 0x800
	v_bfe_u32 v67, v113, 8, 8
	v_lshlrev_b32_sdwa v68, v101, v113 dst_sel:DWORD dst_unused:UNUSED_PAD src0_sel:DWORD src1_sel:BYTE_0
	s_clause 0x1
	global_load_dwordx2 v[59:60], v60, s[4:5]
	global_load_dwordx2 v[61:62], v62, s[4:5]
	v_bfe_u32 v69, v115, 8, 8
	s_clause 0x1
	global_load_dwordx2 v[63:64], v63, s[4:5]
	global_load_dwordx2 v[65:66], v65, s[4:5]
	v_lshl_or_b32 v70, v67, 3, 0x800
	v_lshlrev_b32_sdwa v73, v101, v115 dst_sel:DWORD dst_unused:UNUSED_PAD src0_sel:DWORD src1_sel:BYTE_0
	s_andn2_b32 vcc_lo, exec_lo, s1
	v_lshl_or_b32 v74, v69, 3, 0x800
	s_clause 0x1
	global_load_dwordx2 v[67:68], v68, s[4:5]
	global_load_dwordx2 v[69:70], v70, s[4:5]
	s_waitcnt vmcnt(19)
	v_mul_f32_e32 v114, v41, v18
	v_mul_f32_e32 v18, v39, v18
	;; [unrolled: 1-line block ×4, first 2 shown]
	v_fmac_f32_e32 v114, v39, v17
	v_fma_f32 v39, v41, v17, -v18
	v_lshl_or_b32 v17, v76, 3, 0x1000
	v_bfe_u32 v18, v71, 16, 8
	v_fmac_f32_e32 v116, v37, v19
	v_fma_f32 v35, v35, v19, -v20
	s_clause 0x1
	global_load_dwordx2 v[19:20], v73, s[4:5]
	global_load_dwordx2 v[73:74], v74, s[4:5]
	v_bfe_u32 v41, v72, 16, 8
	global_load_dwordx2 v[71:72], v17, s[4:5]
	v_lshl_or_b32 v17, v18, 3, 0x1000
	v_bfe_u32 v18, v75, 16, 8
	s_waitcnt vmcnt(21)
	v_mul_f32_e32 v37, v42, v14
	v_mul_f32_e32 v14, v40, v14
	v_lshl_or_b32 v41, v41, 3, 0x1000
	global_load_dwordx2 v[75:76], v17, s[4:5]
	v_lshl_or_b32 v117, v18, 3, 0x1000
	v_fmac_f32_e32 v37, v40, v13
	v_fma_f32 v40, v42, v13, -v14
	s_waitcnt vmcnt(21)
	v_mul_f32_e32 v42, v33, v10
	v_mul_f32_e32 v10, v29, v10
	s_clause 0x1
	global_load_dwordx2 v[13:14], v117, s[4:5]
	global_load_dwordx2 v[17:18], v41, s[4:5]
	v_mul_f32_e32 v41, v36, v16
	v_fmac_f32_e32 v42, v29, v9
	v_fma_f32 v33, v33, v9, -v10
	s_waitcnt vmcnt(21)
	v_mul_f32_e32 v120, v109, v2
	v_mul_f32_e32 v2, v105, v2
	v_fmac_f32_e32 v41, v38, v15
	v_mul_f32_e32 v38, v38, v16
	v_and_b32_e32 v16, 15, v79
	v_fmac_f32_e32 v120, v105, v1
	v_mul_f32_e32 v105, v108, v4
	v_mul_f32_e32 v4, v104, v4
	v_fma_f32 v15, v36, v15, -v38
	v_or_b32_e32 v36, 48, v112
	v_or_b32_e32 v38, 64, v112
	v_mul_f32_e32 v112, v31, v12
	v_mul_f32_e32 v12, v27, v12
	v_mul_lo_u32 v9, v25, v16
	v_mul_lo_u32 v10, v25, v36
	v_fmac_f32_e32 v105, v104, v3
	v_fmac_f32_e32 v112, v27, v11
	v_fma_f32 v118, v31, v11, -v12
	v_bfe_u32 v12, v110, 16, 8
	v_mul_f32_e32 v110, v34, v6
	v_mul_f32_e32 v6, v30, v6
	v_bfe_u32 v27, v111, 16, 8
	v_mul_f32_e32 v111, v32, v8
	v_lshl_or_b32 v12, v12, 3, 0x1000
	v_fmac_f32_e32 v110, v30, v5
	v_bfe_u32 v30, v113, 16, 8
	v_fma_f32 v113, v34, v5, -v6
	v_mul_f32_e32 v5, v28, v8
	v_bfe_u32 v8, v115, 16, 8
	v_mul_lo_u32 v11, v25, v38
	v_lshlrev_b32_sdwa v31, v101, v9 dst_sel:DWORD dst_unused:UNUSED_PAD src0_sel:DWORD src1_sel:BYTE_0
	v_bfe_u32 v29, v9, 8, 8
	v_fma_f32 v115, v32, v7, -v5
	global_load_dwordx2 v[5:6], v12, s[4:5]
	v_bfe_u32 v9, v9, 16, 8
	v_bfe_u32 v34, v10, 8, 8
	v_fmac_f32_e32 v111, v28, v7
	v_lshlrev_b32_sdwa v28, v101, v10 dst_sel:DWORD dst_unused:UNUSED_PAD src0_sel:DWORD src1_sel:BYTE_0
	v_bfe_u32 v10, v10, 16, 8
	v_lshl_or_b32 v27, v27, 3, 0x1000
	v_lshlrev_b32_sdwa v36, v101, v11 dst_sel:DWORD dst_unused:UNUSED_PAD src0_sel:DWORD src1_sel:BYTE_0
	v_bfe_u32 v7, v11, 8, 8
	v_bfe_u32 v11, v11, 16, 8
	v_lshl_or_b32 v32, v9, 3, 0x1000
	v_lshl_or_b32 v9, v30, 3, 0x1000
	;; [unrolled: 1-line block ×5, first 2 shown]
	v_fma_f32 v104, v108, v3, -v4
	global_load_dwordx2 v[3:4], v27, s[4:5]
	s_waitcnt vmcnt(22)
	v_mul_f32_e32 v108, v107, v22
	v_mul_f32_e32 v10, v103, v22
	v_lshl_or_b32 v29, v29, 3, 0x800
	v_lshl_or_b32 v121, v7, 3, 0x800
	;; [unrolled: 1-line block ×3, first 2 shown]
	v_mul_f32_e32 v123, v106, v24
	v_mul_f32_e32 v11, v102, v24
	v_fmac_f32_e32 v108, v103, v21
	global_load_dwordx2 v[7:8], v8, s[4:5]
	v_fma_f32 v103, v107, v21, -v10
	global_load_dwordx2 v[9:10], v9, s[4:5]
	v_fma_f32 v109, v109, v1, -v2
	global_load_dwordx2 v[1:2], v29, s[4:5]
	v_fmac_f32_e32 v123, v102, v23
	v_fma_f32 v102, v106, v23, -v11
	s_clause 0x1
	global_load_dwordx2 v[11:12], v28, s[4:5]
	global_load_dwordx2 v[21:22], v30, s[4:5]
	s_waitcnt vmcnt(25)
	v_mul_f32_e32 v23, v44, v46
	s_waitcnt vmcnt(23)
	v_mul_f32_e32 v106, v48, v50
	v_mul_f32_e32 v50, v47, v50
	;; [unrolled: 1-line block ×3, first 2 shown]
	v_or_b32_e32 v117, 16, v16
	v_fma_f32 v43, v43, v45, -v23
	s_clause 0x2
	global_load_dwordx2 v[23:24], v36, s[4:5]
	global_load_dwordx2 v[27:28], v34, s[4:5]
	;; [unrolled: 1-line block ×3, first 2 shown]
	v_fma_f32 v36, v47, v49, -v106
	v_fmac_f32_e32 v50, v48, v49
	s_waitcnt vmcnt(22)
	v_mul_f32_e32 v48, v54, v58
	v_mul_f32_e32 v49, v53, v58
	v_fmac_f32_e32 v46, v44, v45
	v_mul_f32_e32 v34, v52, v56
	v_mul_f32_e32 v44, v51, v56
	v_fma_f32 v48, v53, v57, -v48
	v_fmac_f32_e32 v49, v54, v57
	s_waitcnt vmcnt(18)
	v_mul_f32_e32 v57, v64, v66
	v_fma_f32 v34, v51, v55, -v34
	v_fmac_f32_e32 v44, v52, v55
	v_mul_f32_e32 v55, v60, v62
	v_mul_f32_e32 v53, v59, v62
	;; [unrolled: 1-line block ×3, first 2 shown]
	v_fma_f32 v62, v63, v65, -v57
	s_waitcnt vmcnt(16)
	v_mul_f32_e32 v57, v68, v70
	v_mul_f32_e32 v63, v67, v70
	v_add_f32_e32 v47, v116, v42
	v_fmac_f32_e32 v56, v64, v65
	v_add_f32_e32 v54, v114, v112
	v_fma_f32 v66, v67, v69, -v57
	v_fmac_f32_e32 v63, v68, v69
	v_fma_f32 v55, v59, v61, -v55
	v_fmac_f32_e32 v53, v60, v61
	v_sub_f32_e32 v58, v116, v114
	v_sub_f32_e32 v59, v42, v112
	v_add_f32_e32 v60, v35, v33
	v_sub_f32_e32 v64, v39, v35
	v_sub_f32_e32 v57, v118, v33
	v_add_f32_e32 v68, v39, v118
	v_add_f32_e32 v45, v99, v114
	;; [unrolled: 1-line block ×3, first 2 shown]
	v_fma_f32 v106, -0.5, v60, v100
	v_add_f32_e32 v64, v64, v57
	v_fmac_f32_e32 v100, -0.5, v68
	v_sub_f32_e32 v68, v15, v40
	v_sub_f32_e32 v57, v113, v115
	v_mul_lo_u32 v38, v25, v117
	v_sub_f32_e32 v51, v114, v116
	v_sub_f32_e32 v52, v112, v42
	v_add_f32_e32 v124, v94, v120
	v_add_f32_e32 v52, v51, v52
	v_bfe_u32 v117, v38, 8, 8
	v_lshlrev_b32_sdwa v119, v101, v38 dst_sel:DWORD dst_unused:UNUSED_PAD src0_sel:DWORD src1_sel:BYTE_0
	v_sub_f32_e32 v51, v40, v15
	s_waitcnt vmcnt(14)
	v_mul_f32_e32 v65, v20, v74
	v_mul_f32_e32 v67, v19, v74
	s_waitcnt vmcnt(13)
	v_mul_f32_e32 v69, v46, v72
	v_mul_f32_e32 v72, v43, v72
	v_add_f32_e32 v74, v37, v111
	v_fma_f32 v70, v19, v73, -v65
	v_fmac_f32_e32 v67, v20, v73
	v_fma_f32 v43, v71, v43, -v69
	s_waitcnt vmcnt(12)
	v_mul_f32_e32 v69, v50, v76
	v_fmac_f32_e32 v72, v71, v46
	v_mul_f32_e32 v46, v36, v76
	v_sub_f32_e32 v19, v35, v39
	v_sub_f32_e32 v20, v33, v118
	v_fma_f32 v69, v75, v36, -v69
	s_waitcnt vmcnt(11)
	v_mul_f32_e32 v36, v44, v14
	v_fmac_f32_e32 v46, v75, v50
	v_mul_f32_e32 v50, v34, v14
	v_add_f32_e32 v71, v41, v110
	v_sub_f32_e32 v73, v37, v41
	v_sub_f32_e32 v14, v111, v110
	v_fma_f32 v75, v13, v34, -v36
	v_sub_f32_e32 v34, v41, v37
	v_fmac_f32_e32 v50, v13, v44
	v_sub_f32_e32 v13, v110, v111
	v_add_f32_e32 v65, v95, v37
	v_add_f32_e32 v36, v15, v113
	v_fma_f32 v76, -0.5, v47, v99
	v_fmac_f32_e32 v99, -0.5, v54
	v_add_f32_e32 v54, v58, v59
	v_add_f32_e32 v59, v40, v115
	;; [unrolled: 1-line block ×5, first 2 shown]
	v_sub_f32_e32 v20, v120, v105
	v_fma_f32 v58, -0.5, v71, v95
	v_fmac_f32_e32 v95, -0.5, v74
	v_sub_f32_e32 v71, v123, v108
	v_add_f32_e32 v74, v34, v13
	global_load_dwordx2 v[13:14], v31, s[4:5]
	v_add_f32_e32 v44, v98, v40
	v_fma_f32 v60, -0.5, v36, v98
	v_fmac_f32_e32 v98, -0.5, v59
	v_add_f32_e32 v59, v68, v57
	v_add_f32_e32 v68, v20, v71
	v_sub_f32_e32 v36, v108, v123
	v_fma_f32 v57, -0.5, v19, v94
	global_load_dwordx2 v[19:20], v122, s[4:5]
	v_sub_f32_e32 v31, v105, v120
	v_add_f32_e32 v34, v120, v123
	v_sub_f32_e32 v47, v115, v113
	v_sub_f32_e32 v40, v40, v115
	;; [unrolled: 1-line block ×3, first 2 shown]
	v_add_f32_e32 v71, v31, v36
	global_load_dwordx2 v[31:32], v32, s[4:5]
	v_fmac_f32_e32 v94, -0.5, v34
	v_add_f32_e32 v34, v45, v116
	v_add_f32_e32 v45, v61, v35
	v_lshl_or_b32 v36, v117, 3, 0x800
	v_add_f32_e32 v121, v51, v47
	v_sub_f32_e32 v47, v116, v42
	v_sub_f32_e32 v51, v35, v33
	v_add_f32_e32 v42, v34, v42
	v_add_f32_e32 v45, v45, v33
	s_clause 0x1
	global_load_dwordx2 v[33:34], v119, s[4:5]
	global_load_dwordx2 v[35:36], v36, s[4:5]
	v_add_f32_e32 v65, v65, v41
	v_sub_f32_e32 v41, v41, v110
	v_add_f32_e32 v44, v44, v15
	v_sub_f32_e32 v15, v15, v113
	v_sub_f32_e32 v37, v37, v111
	v_fmamk_f32 v117, v40, 0xbf737871, v58
	v_fmac_f32_e32 v58, 0x3f737871, v40
	v_sub_f32_e32 v61, v114, v112
	v_add_f32_e32 v42, v42, v112
	v_fmamk_f32 v112, v39, 0xbf737871, v76
	v_add_f32_e32 v45, v45, v118
	v_fmamk_f32 v114, v51, 0x3f737871, v99
	v_fmac_f32_e32 v99, 0xbf737871, v51
	v_fmamk_f32 v118, v15, 0x3f737871, v95
	v_fmac_f32_e32 v95, 0xbf737871, v15
	;; [unrolled: 2-line block ×3, first 2 shown]
	v_fmac_f32_e32 v117, 0xbf167918, v15
	v_fmac_f32_e32 v58, 0x3f167918, v15
	v_fmamk_f32 v15, v41, 0xbf737871, v98
	v_fmac_f32_e32 v98, 0x3f737871, v41
	v_fmac_f32_e32 v76, 0x3f737871, v39
	;; [unrolled: 1-line block ×3, first 2 shown]
	v_fmamk_f32 v116, v61, 0x3f737871, v106
	v_fmac_f32_e32 v114, 0xbf167918, v39
	v_fmac_f32_e32 v99, 0x3f167918, v39
	v_fmamk_f32 v39, v47, 0xbf737871, v100
	v_fmac_f32_e32 v100, 0x3f737871, v47
	v_fmac_f32_e32 v119, 0x3f167918, v41
	;; [unrolled: 1-line block ×3, first 2 shown]
	s_waitcnt vmcnt(15)
	v_mul_f32_e32 v41, v49, v18
	v_fmac_f32_e32 v15, 0x3f167918, v37
	v_fmac_f32_e32 v98, 0xbf167918, v37
	v_mul_f32_e32 v18, v48, v18
	s_waitcnt vmcnt(14)
	v_mul_f32_e32 v37, v53, v6
	v_mul_f32_e32 v6, v55, v6
	v_fmac_f32_e32 v76, 0x3f167918, v51
	v_fmac_f32_e32 v106, 0xbf737871, v61
	v_fmac_f32_e32 v116, 0x3f167918, v47
	v_fmac_f32_e32 v39, 0x3f167918, v61
	v_fmac_f32_e32 v100, 0xbf167918, v61
	v_fma_f32 v61, v17, v48, -v41
	v_fmac_f32_e32 v18, v17, v49
	v_fma_f32 v17, v5, v55, -v37
	v_fmac_f32_e32 v6, v5, v53
	v_mul_f32_e32 v5, v42, v72
	v_fmac_f32_e32 v112, 0x3e9e377a, v52
	v_fmac_f32_e32 v116, 0x3e9e377a, v64
	;; [unrolled: 1-line block ×4, first 2 shown]
	v_fma_f32 v52, v45, v43, -v5
	v_mul_f32_e32 v5, v112, v46
	v_add_f32_e32 v65, v65, v110
	v_add_f32_e32 v44, v44, v113
	v_sub_f32_e32 v113, v104, v103
	v_mul_f32_e32 v51, v45, v72
	v_fmac_f32_e32 v114, 0x3e9e377a, v54
	v_fmac_f32_e32 v100, 0x3e9e377a, v107
	v_fma_f32 v48, v116, v69, -v5
	v_mul_f32_e32 v5, v99, v18
	v_sub_f32_e32 v110, v109, v102
	v_add_f32_e32 v111, v65, v111
	v_fmamk_f32 v65, v113, 0x3f737871, v94
	v_fmac_f32_e32 v94, 0xbf737871, v113
	v_fmac_f32_e32 v39, 0x3e9e377a, v107
	v_mul_f32_e32 v37, v114, v50
	v_fmac_f32_e32 v51, v42, v43
	v_fma_f32 v42, v100, v61, -v5
	s_waitcnt vmcnt(11)
	v_mul_f32_e32 v5, v63, v10
	v_mul_f32_e32 v10, v66, v10
	v_fmamk_f32 v122, v110, 0xbf737871, v57
	v_fmac_f32_e32 v57, 0x3f737871, v110
	v_fmac_f32_e32 v65, 0xbf167918, v110
	;; [unrolled: 1-line block ×3, first 2 shown]
	v_or_b32_e32 v110, 32, v16
	v_fmac_f32_e32 v118, 0xbf167918, v40
	v_fmac_f32_e32 v95, 0x3f167918, v40
	v_add_f32_e32 v40, v44, v115
	v_mul_f32_e32 v43, v39, v50
	v_fma_f32 v44, v39, v75, -v37
	v_fma_f32 v5, v9, v66, -v5
	s_waitcnt vmcnt(8)
	v_mul_f32_e32 v39, v11, v22
	v_fmac_f32_e32 v10, v9, v63
	v_mul_f32_e32 v9, v12, v22
	v_mul_lo_u32 v37, v25, v110
	v_fmac_f32_e32 v106, 0xbf167918, v47
	v_mul_f32_e32 v41, v100, v18
	v_mul_f32_e32 v18, v56, v4
	v_mul_f32_e32 v4, v62, v4
	v_fmac_f32_e32 v39, v12, v21
	v_mul_f32_e32 v12, v70, v8
	v_mul_f32_e32 v8, v67, v8
	v_or_b32_e32 v45, 48, v16
	v_fma_f32 v9, v11, v21, -v9
	v_bfe_u32 v11, v38, 16, 8
	v_fmac_f32_e32 v106, 0x3e9e377a, v64
	v_fmac_f32_e32 v15, 0x3e9e377a, v59
	;; [unrolled: 1-line block ×4, first 2 shown]
	v_fma_f32 v59, v7, v70, -v8
	v_mul_lo_u32 v21, v25, v45
	v_lshl_or_b32 v8, v11, 3, 0x1000
	v_fma_f32 v18, v3, v62, -v18
	v_bfe_u32 v3, v37, 8, 8
	v_fmac_f32_e32 v12, v7, v67
	v_bfe_u32 v7, v37, 16, 8
	v_mul_f32_e32 v11, v76, v6
	v_lshlrev_b32_sdwa v22, v101, v37 dst_sel:DWORD dst_unused:UNUSED_PAD src0_sel:DWORD src1_sel:BYTE_0
	v_fmac_f32_e32 v41, v99, v61
	v_mul_f32_e32 v45, v106, v6
	global_load_dwordx2 v[61:62], v8, s[4:5]
	v_mul_f32_e32 v8, v111, v4
	v_mul_f32_e32 v49, v40, v4
	v_add_f32_e32 v4, v124, v105
	v_lshl_or_b32 v3, v3, 3, 0x800
	v_lshl_or_b32 v6, v7, 3, 0x1000
	v_mul_f32_e32 v47, v116, v46
	v_fma_f32 v46, v106, v17, -v11
	v_lshlrev_b32_sdwa v11, v101, v21 dst_sel:DWORD dst_unused:UNUSED_PAD src0_sel:DWORD src1_sel:BYTE_0
	v_fmac_f32_e32 v122, 0xbf167918, v113
	v_fmac_f32_e32 v57, 0x3f167918, v113
	;; [unrolled: 1-line block ×8, first 2 shown]
	s_clause 0x3
	global_load_dwordx2 v[63:64], v22, s[4:5]
	global_load_dwordx2 v[66:67], v3, s[4:5]
	;; [unrolled: 1-line block ×4, first 2 shown]
	v_add_f32_e32 v3, v4, v108
	v_bfe_u32 v7, v21, 8, 8
	v_fma_f32 v50, v40, v18, -v8
	v_add_f32_e32 v8, v97, v109
	v_fmac_f32_e32 v122, 0x3e9e377a, v68
	v_fmac_f32_e32 v57, 0x3e9e377a, v68
	v_add_f32_e32 v68, v3, v123
	v_or_b32_e32 v3, 64, v16
	v_lshl_or_b32 v7, v7, 3, 0x800
	v_add_f32_e32 v4, v8, v104
	v_sub_f32_e32 v6, v109, v104
	v_fmac_f32_e32 v47, v112, v69
	v_mul_lo_u32 v11, v25, v3
	global_load_dwordx2 v[99:100], v7, s[4:5]
	v_add_f32_e32 v4, v4, v103
	v_sub_f32_e32 v7, v102, v103
	v_add_f32_e32 v3, v104, v103
	v_fmac_f32_e32 v119, 0x3e9e377a, v121
	v_fmac_f32_e32 v65, 0x3e9e377a, v71
	v_add_f32_e32 v112, v4, v102
	v_add_f32_e32 v113, v6, v7
	;; [unrolled: 1-line block ×3, first 2 shown]
	v_bfe_u32 v6, v11, 8, 8
	v_fma_f32 v114, -0.5, v3, v97
	v_mul_f32_e32 v3, v117, v10
	v_fmac_f32_e32 v94, 0x3e9e377a, v71
	v_fmac_f32_e32 v97, -0.5, v4
	v_lshl_or_b32 v6, v6, 3, 0x800
	s_waitcnt vmcnt(12)
	v_mul_f32_e32 v4, v39, v28
	v_sub_f32_e32 v71, v103, v102
	v_mul_f32_e32 v53, v119, v10
	v_fma_f32 v54, v119, v5, -v3
	v_and_b32_e32 v3, 60, v96
	global_load_dwordx2 v[102:103], v6, s[4:5]
	v_fma_f32 v96, v27, v9, -v4
	s_waitcnt vmcnt(12)
	v_mul_f32_e32 v4, v24, v30
	v_fmac_f32_e32 v53, v117, v5
	v_mul_f32_e32 v72, v9, v28
	v_lshlrev_b32_e32 v5, 3, v3
	v_mul_f32_e32 v3, v118, v12
	v_mul_f32_e32 v9, v23, v30
	;; [unrolled: 1-line block ×3, first 2 shown]
	v_fma_f32 v10, v23, v29, -v4
	v_fmac_f32_e32 v49, v111, v18
	v_fma_f32 v56, v15, v59, -v3
	v_fmac_f32_e32 v9, v24, v29
	v_lshlrev_b32_sdwa v16, v101, v11 dst_sel:DWORD dst_unused:UNUSED_PAD src0_sel:DWORD src1_sel:BYTE_0
	v_sub_f32_e32 v69, v105, v108
	v_sub_f32_e32 v70, v104, v109
	v_fmac_f32_e32 v72, v27, v39
	v_sub_f32_e32 v110, v120, v123
	v_fmac_f32_e32 v60, 0x3e9e377a, v121
	v_fmac_f32_e32 v55, v118, v59
	v_fmamk_f32 v118, v69, 0xbf737871, v97
	v_fmac_f32_e32 v97, 0x3f737871, v69
	v_fmamk_f32 v120, v110, 0x3f737871, v114
	v_fmac_f32_e32 v114, 0xbf737871, v110
	v_mul_f32_e32 v59, v95, v72
	v_fmac_f32_e32 v118, 0x3f167918, v110
	v_fmac_f32_e32 v97, 0xbf167918, v110
	;; [unrolled: 1-line block ×6, first 2 shown]
	s_waitcnt vmcnt(11)
	v_mul_f32_e32 v6, v14, v2
	v_mul_f32_e32 v12, v13, v2
	v_fma_f32 v13, v13, v1, -v6
	v_fmac_f32_e32 v12, v14, v1
	s_clause 0x1
	global_load_dwordx4 v[1:4], v5, s[18:19] offset:128
	global_load_dwordx4 v[5:8], v5, s[18:19] offset:112
	s_waitcnt vmcnt(12)
	v_mul_f32_e32 v111, v10, v20
	v_mul_f32_e32 v15, v9, v20
	v_fmac_f32_e32 v111, v19, v9
	v_fma_f32 v116, v19, v10, -v15
	s_waitcnt vmcnt(11)
	v_mul_f32_e32 v115, v13, v32
	v_mul_f32_e32 v9, v12, v32
	v_bfe_u32 v10, v21, 16, 8
	v_mul_f32_e32 v69, v60, v111
	v_fmac_f32_e32 v115, v31, v12
	v_and_b32_e32 v12, 15, v81
	v_fma_f32 v81, v31, v13, -v9
	v_lshl_or_b32 v10, v10, 3, 0x1000
	s_clause 0x1
	global_load_dwordx2 v[104:105], v16, s[4:5]
	global_load_dwordx2 v[106:107], v10, s[4:5]
	s_waitcnt vmcnt(11)
	v_mul_f32_e32 v9, v34, v36
	v_or_b32_e32 v14, 16, v12
	v_mul_lo_u32 v13, v25, v12
	v_or_b32_e32 v15, 32, v12
	v_mul_f32_e32 v117, v33, v36
	v_fma_f32 v119, v33, v35, -v9
	v_bfe_u32 v9, v11, 16, 8
	v_mul_lo_u32 v11, v25, v14
	v_mul_lo_u32 v15, v25, v15
	v_fmac_f32_e32 v117, v34, v35
	v_bfe_u32 v10, v13, 8, 8
	v_bfe_u32 v14, v13, 16, 8
	v_lshl_or_b32 v9, v9, 3, 0x1000
	v_lshlrev_b32_sdwa v13, v101, v13 dst_sel:DWORD dst_unused:UNUSED_PAD src0_sel:DWORD src1_sel:BYTE_0
	v_fmac_f32_e32 v69, v58, v116
	v_bfe_u32 v16, v11, 8, 8
	v_lshl_or_b32 v10, v10, 3, 0x800
	v_lshl_or_b32 v14, v14, 3, 0x1000
	s_clause 0x3
	global_load_dwordx2 v[108:109], v9, s[4:5]
	global_load_dwordx2 v[17:18], v13, s[4:5]
	;; [unrolled: 1-line block ×4, first 2 shown]
	v_lshl_or_b32 v13, v16, 3, 0x800
	v_or_b32_e32 v16, 48, v12
	v_or_b32_e32 v12, 64, v12
	v_bfe_u32 v21, v11, 16, 8
	v_lshlrev_b32_sdwa v11, v101, v11 dst_sel:DWORD dst_unused:UNUSED_PAD src0_sel:DWORD src1_sel:BYTE_0
	v_bfe_u32 v22, v15, 8, 8
	v_mul_lo_u32 v16, v25, v16
	v_mul_lo_u32 v29, v25, v12
	v_lshl_or_b32 v14, v21, 3, 0x1000
	v_lshlrev_b32_sdwa v21, v101, v15 dst_sel:DWORD dst_unused:UNUSED_PAD src0_sel:DWORD src1_sel:BYTE_0
	v_bfe_u32 v15, v15, 16, 8
	s_clause 0x3
	global_load_dwordx2 v[23:24], v11, s[4:5]
	global_load_dwordx2 v[27:28], v13, s[4:5]
	;; [unrolled: 1-line block ×4, first 2 shown]
	v_lshl_or_b32 v21, v22, 3, 0x800
	v_bfe_u32 v22, v16, 8, 8
	v_bfe_u32 v30, v16, 16, 8
	;; [unrolled: 1-line block ×4, first 2 shown]
	v_lshl_or_b32 v15, v15, 3, 0x1000
	v_lshlrev_b32_sdwa v16, v101, v16 dst_sel:DWORD dst_unused:UNUSED_PAD src0_sel:DWORD src1_sel:BYTE_0
	v_lshl_or_b32 v22, v22, 3, 0x800
	v_lshl_or_b32 v30, v30, 3, 0x1000
	v_lshlrev_b32_sdwa v29, v101, v29 dst_sel:DWORD dst_unused:UNUSED_PAD src0_sel:DWORD src1_sel:BYTE_0
	v_lshl_or_b32 v31, v31, 3, 0x800
	v_lshl_or_b32 v101, v32, 3, 0x1000
	s_clause 0x7
	global_load_dwordx2 v[39:40], v21, s[4:5]
	global_load_dwordx2 v[37:38], v15, s[4:5]
	;; [unrolled: 1-line block ×8, first 2 shown]
	v_add_f32_e32 v101, v70, v71
	v_mul_f32_e32 v70, v58, v111
	v_mul_f32_e32 v71, v98, v72
	v_fma_f32 v72, v98, v96, -v59
	v_mul_f32_e32 v59, v112, v115
	v_fmac_f32_e32 v118, 0x3e9e377a, v101
	v_fma_f32 v70, v60, v116, -v70
	v_fmac_f32_e32 v97, 0x3e9e377a, v101
	v_fmac_f32_e32 v71, v95, v96
	;; [unrolled: 1-line block ×3, first 2 shown]
	s_waitcnt vmcnt(24)
	v_mul_f32_e32 v58, v63, v67
	v_mul_f32_e32 v60, v64, v67
	;; [unrolled: 1-line block ×3, first 2 shown]
	v_fmac_f32_e32 v58, v64, v66
	v_mul_f32_e32 v64, v117, v62
	v_fma_f32 v63, v63, v66, -v60
	v_mul_f32_e32 v62, v119, v62
	v_fma_f32 v60, v112, v81, -v67
	s_waitcnt vmcnt(23)
	v_mul_f32_e32 v66, v58, v74
	v_fma_f32 v67, v61, v119, -v64
	v_mul_f32_e32 v68, v63, v74
	v_fmac_f32_e32 v62, v61, v117
	v_fma_f32 v66, v73, v63, -v66
	s_waitcnt vmcnt(21)
	v_mul_f32_e32 v64, v76, v100
	v_mul_f32_e32 v74, v75, v100
	v_fmac_f32_e32 v68, v73, v58
	v_mul_f32_e32 v63, v120, v62
	v_fma_f32 v58, v75, v99, -v64
	v_fmac_f32_e32 v74, v76, v99
	v_fmac_f32_e32 v63, v122, v67
	s_waitcnt vmcnt(17)
	v_mul_f32_e32 v61, v105, v103
	v_mul_f32_e32 v73, v104, v103
	v_fma_f32 v75, v104, v102, -v61
	v_mul_f32_e32 v61, v122, v62
	v_mul_f32_e32 v62, v65, v68
	v_fmac_f32_e32 v73, v105, v102
	v_fma_f32 v64, v120, v67, -v61
	v_mul_f32_e32 v61, v118, v68
	v_fma_f32 v62, v118, v66, -v62
	s_waitcnt vmcnt(16)
	v_mul_f32_e32 v67, v58, v107
	v_fmac_f32_e32 v61, v65, v66
	s_waitcnt vmcnt(15)
	v_mul_f32_e32 v66, v75, v109
	v_mul_f32_e32 v65, v74, v107
	v_fmac_f32_e32 v67, v106, v74
	v_mul_f32_e32 v68, v73, v109
	v_fmac_f32_e32 v66, v108, v73
	v_fma_f32 v58, v106, v58, -v65
	v_mul_f32_e32 v65, v97, v67
	v_mul_f32_e32 v73, v94, v67
	v_fma_f32 v68, v108, v75, -v68
	v_mul_f32_e32 v67, v114, v66
	v_mul_f32_e32 v74, v57, v66
	v_fmac_f32_e32 v65, v94, v58
	v_fma_f32 v66, v97, v58, -v73
	v_fmac_f32_e32 v67, v57, v68
	v_fma_f32 v68, v114, v68, -v74
	s_cbranch_vccnz .LBB0_16
; %bb.15:
	v_cmp_lt_u32_e32 vcc_lo, 0x32f, v0
	v_mad_u64_u32 v[57:58], null, s8, v77, 0
	s_lshl_b64 s[6:7], s[2:3], 3
	v_cndmask_b32_e64 v73, 0, 0x50, vcc_lo
	s_add_u32 s1, s16, s6
	s_addc_u32 s5, s17, s7
	v_mad_u64_u32 v[75:76], null, s9, v77, v[58:59]
	v_or_b32_e32 v99, v78, v73
	v_mad_u64_u32 v[73:74], null, s12, v99, 0
	v_add_nc_u32_e32 v98, 16, v99
	v_or_b32_e32 v100, 32, v99
	v_add_nc_u32_e32 v101, 64, v99
	v_mad_u64_u32 v[94:95], null, s12, v98, 0
	v_mov_b32_e32 v58, v74
	v_mad_u64_u32 v[96:97], null, s13, v99, v[58:59]
	v_mov_b32_e32 v58, v75
	;; [unrolled: 2-line block ×3, first 2 shown]
	v_lshlrev_b64 v[57:58], 3, v[57:58]
	v_mov_b32_e32 v74, v96
	v_mad_u64_u32 v[95:96], null, s13, v98, v[81:82]
	v_mad_u64_u32 v[96:97], null, s13, v100, v[76:77]
	v_lshlrev_b64 v[73:74], 3, v[73:74]
	v_add_nc_u32_e32 v81, 48, v99
	v_add_co_u32 v57, vcc_lo, s1, v57
	v_add_co_ci_u32_e32 v58, vcc_lo, s5, v58, vcc_lo
	v_lshlrev_b64 v[94:95], 3, v[94:95]
	v_add_co_u32 v73, vcc_lo, v57, v73
	v_mad_u64_u32 v[97:98], null, s12, v81, 0
	v_add_co_ci_u32_e32 v74, vcc_lo, v58, v74, vcc_lo
	v_mov_b32_e32 v76, v96
	v_mad_u64_u32 v[99:100], null, s12, v101, 0
	v_add_co_u32 v94, vcc_lo, v57, v94
	global_store_dwordx2 v[73:74], v[51:52], off
	v_lshlrev_b64 v[74:75], 3, v[75:76]
	v_add_co_ci_u32_e32 v95, vcc_lo, v58, v95, vcc_lo
	v_mov_b32_e32 v73, v98
	s_and_b32 s1, s0, exec_lo
	global_store_dwordx2 v[94:95], v[47:48], off
	v_mad_u64_u32 v[94:95], null, s13, v81, v[73:74]
	v_mov_b32_e32 v73, v100
	v_add_co_u32 v74, vcc_lo, v57, v74
	v_and_or_b32 v81, 0xc0, v89, v80
	v_add_co_ci_u32_e32 v75, vcc_lo, v58, v75, vcc_lo
	v_mad_u64_u32 v[95:96], null, s13, v101, v[73:74]
	v_mad_u64_u32 v[101:102], null, s12, v81, 0
	v_add_nc_u32_e32 v103, 16, v81
	v_mov_b32_e32 v98, v94
	global_store_dwordx2 v[74:75], v[43:44], off
	v_mov_b32_e32 v100, v95
	v_mad_u64_u32 v[94:95], null, s12, v103, 0
	v_lshlrev_b64 v[73:74], 3, v[97:98]
	v_mov_b32_e32 v75, v102
	v_lshlrev_b64 v[96:97], 3, v[99:100]
	v_add_nc_u32_e32 v100, 32, v81
	v_mad_u64_u32 v[75:76], null, s13, v81, v[75:76]
	v_add_co_u32 v73, vcc_lo, v57, v73
	v_mov_b32_e32 v76, v95
	v_add_co_ci_u32_e32 v74, vcc_lo, v58, v74, vcc_lo
	v_add_co_u32 v95, vcc_lo, v57, v96
	v_add_co_ci_u32_e32 v96, vcc_lo, v58, v97, vcc_lo
	v_mad_u64_u32 v[97:98], null, s13, v103, v[76:77]
	v_mad_u64_u32 v[98:99], null, s12, v100, 0
	v_add_nc_u32_e32 v103, 48, v81
	global_store_dwordx2 v[73:74], v[41:42], off
	v_mov_b32_e32 v102, v75
	global_store_dwordx2 v[95:96], v[45:46], off
	v_mov_b32_e32 v95, v97
	v_mad_u64_u32 v[96:97], null, s12, v103, 0
	v_mov_b32_e32 v75, v99
	v_add_nc_u32_e32 v81, 64, v81
	v_lshlrev_b64 v[73:74], 3, v[101:102]
	v_lshlrev_b64 v[94:95], 3, v[94:95]
	v_and_or_b32 v102, 0xc0, v84, v79
	v_mad_u64_u32 v[75:76], null, s13, v100, v[75:76]
	v_mov_b32_e32 v76, v97
	v_mad_u64_u32 v[100:101], null, s12, v81, 0
	v_add_co_u32 v73, vcc_lo, v57, v73
	v_add_co_ci_u32_e32 v74, vcc_lo, v58, v74, vcc_lo
	v_mov_b32_e32 v99, v75
	v_mad_u64_u32 v[75:76], null, s13, v103, v[76:77]
	v_add_co_u32 v94, vcc_lo, v57, v94
	v_add_co_ci_u32_e32 v95, vcc_lo, v58, v95, vcc_lo
	global_store_dwordx2 v[73:74], v[49:50], off
	v_lshlrev_b64 v[73:74], 3, v[98:99]
	v_mov_b32_e32 v97, v75
	v_mov_b32_e32 v75, v101
                                        ; kill: def $vgpr76 killed $sgpr0 killed $exec
	global_store_dwordx2 v[94:95], v[53:54], off
	v_add_nc_u32_e32 v103, 48, v102
	v_add_nc_u32_e32 v104, 64, v102
	v_lshlrev_b64 v[94:95], 3, v[96:97]
	v_mad_u64_u32 v[75:76], null, s13, v81, v[75:76]
	v_mad_u64_u32 v[96:97], null, s12, v102, 0
	v_add_co_u32 v73, vcc_lo, v57, v73
	v_add_nc_u32_e32 v81, 16, v102
	v_add_co_ci_u32_e32 v74, vcc_lo, v58, v74, vcc_lo
	v_mov_b32_e32 v101, v75
	v_add_co_u32 v94, vcc_lo, v57, v94
	v_mad_u64_u32 v[75:76], null, s12, v81, 0
	global_store_dwordx2 v[73:74], v[55:56], off
	v_mov_b32_e32 v73, v97
	v_lshlrev_b64 v[97:98], 3, v[100:101]
	v_add_co_ci_u32_e32 v95, vcc_lo, v58, v95, vcc_lo
                                        ; kill: def $vgpr74 killed $sgpr0 killed $exec
	v_add_nc_u32_e32 v100, 32, v102
	v_mad_u64_u32 v[73:74], null, s13, v102, v[73:74]
	v_mov_b32_e32 v74, v76
	global_store_dwordx2 v[94:95], v[71:72], off
	v_add_co_u32 v94, vcc_lo, v57, v97
	v_add_co_ci_u32_e32 v95, vcc_lo, v58, v98, vcc_lo
	v_mad_u64_u32 v[98:99], null, s13, v81, v[74:75]
	v_mov_b32_e32 v97, v73
	global_store_dwordx2 v[94:95], v[69:70], off
	v_mad_u64_u32 v[73:74], null, s12, v100, 0
	v_lshlrev_b64 v[94:95], 3, v[96:97]
	v_mov_b32_e32 v76, v98
	v_mad_u64_u32 v[96:97], null, s12, v103, 0
	v_mad_u64_u32 v[98:99], null, s12, v104, 0
	v_lshlrev_b64 v[75:76], 3, v[75:76]
	v_add_co_u32 v94, vcc_lo, v57, v94
	v_add_co_ci_u32_e32 v95, vcc_lo, v58, v95, vcc_lo
	v_mov_b32_e32 v81, v97
	v_mad_u64_u32 v[100:101], null, s13, v100, v[74:75]
	v_add_co_u32 v75, vcc_lo, v57, v75
	v_mad_u64_u32 v[101:102], null, s13, v103, v[81:82]
	v_mov_b32_e32 v81, v99
	v_add_co_ci_u32_e32 v76, vcc_lo, v58, v76, vcc_lo
	v_mov_b32_e32 v74, v100
	global_store_dwordx2 v[94:95], v[59:60], off
	v_mad_u64_u32 v[99:100], null, s13, v104, v[81:82]
	v_mov_b32_e32 v97, v101
	v_lshlrev_b64 v[73:74], 3, v[73:74]
	global_store_dwordx2 v[75:76], v[63:64], off
	v_lshlrev_b64 v[75:76], 3, v[96:97]
	v_lshlrev_b64 v[94:95], 3, v[98:99]
	v_add_co_u32 v73, vcc_lo, v57, v73
	v_add_co_ci_u32_e32 v74, vcc_lo, v58, v74, vcc_lo
	v_add_co_u32 v75, vcc_lo, v57, v75
	v_add_co_ci_u32_e32 v76, vcc_lo, v58, v76, vcc_lo
	;; [unrolled: 2-line block ×3, first 2 shown]
	global_store_dwordx2 v[73:74], v[61:62], off
	global_store_dwordx2 v[75:76], v[65:66], off
	;; [unrolled: 1-line block ×3, first 2 shown]
	s_cbranch_execz .LBB0_17
	s_branch .LBB0_20
.LBB0_16:
	s_mov_b32 s1, 0
                                        ; implicit-def: $vgpr57_vgpr58
.LBB0_17:
	s_mov_b32 s4, exec_lo
                                        ; implicit-def: $vgpr57_vgpr58
	v_cmpx_gt_u64_e64 s[14:15], v[25:26]
	s_cbranch_execz .LBB0_19
; %bb.18:
	v_cmp_lt_u32_e32 vcc_lo, 0x32f, v0
	v_mad_u64_u32 v[25:26], null, s8, v77, 0
	s_lshl_b64 s[2:3], s[2:3], 3
	v_and_or_b32 v89, 0xc0, v89, v80
	v_cndmask_b32_e64 v0, 0, 0x50, vcc_lo
	s_add_u32 s2, s16, s2
	s_addc_u32 s3, s17, s3
	s_andn2_b32 s1, s1, exec_lo
	s_and_b32 s0, s0, exec_lo
	v_or_b32_e32 v81, v78, v0
	v_mov_b32_e32 v0, v26
	s_or_b32 s1, s1, s0
	v_mad_u64_u32 v[57:58], null, s12, v81, 0
	v_add_nc_u32_e32 v94, 16, v81
	v_mad_u64_u32 v[73:74], null, s9, v77, v[0:1]
	v_or_b32_e32 v96, 32, v81
	v_add_nc_u32_e32 v97, 48, v81
	v_mad_u64_u32 v[74:75], null, s12, v94, 0
	v_mov_b32_e32 v0, v58
	v_mov_b32_e32 v26, v73
	v_mad_u64_u32 v[76:77], null, s13, v81, v[0:1]
	v_mov_b32_e32 v0, v75
	v_lshlrev_b64 v[25:26], 3, v[25:26]
	v_mad_u64_u32 v[77:78], null, s12, v96, 0
	v_add_nc_u32_e32 v81, 64, v81
	v_mov_b32_e32 v58, v76
	v_mad_u64_u32 v[75:76], null, s13, v94, v[0:1]
	v_mov_b32_e32 v0, v78
	v_lshlrev_b64 v[94:95], 3, v[57:58]
	v_add_co_u32 v57, vcc_lo, s2, v25
	v_add_co_ci_u32_e32 v58, vcc_lo, s3, v26, vcc_lo
	v_lshlrev_b64 v[73:74], 3, v[74:75]
	v_add_co_u32 v25, vcc_lo, v57, v94
	v_add_co_ci_u32_e32 v26, vcc_lo, v58, v95, vcc_lo
	v_mad_u64_u32 v[94:95], null, s13, v96, v[0:1]
	v_add_co_u32 v73, vcc_lo, v57, v73
	global_store_dwordx2 v[25:26], v[51:52], off
	v_mad_u64_u32 v[25:26], null, s12, v97, 0
	v_mad_u64_u32 v[51:52], null, s12, v81, 0
	v_mov_b32_e32 v78, v94
	v_mad_u64_u32 v[94:95], null, s12, v89, 0
	v_add_co_ci_u32_e32 v74, vcc_lo, v58, v74, vcc_lo
	v_mov_b32_e32 v0, v26
	v_lshlrev_b64 v[75:76], 3, v[77:78]
	v_mov_b32_e32 v26, v52
	global_store_dwordx2 v[73:74], v[47:48], off
	v_add_nc_u32_e32 v73, 16, v89
	v_mad_u64_u32 v[77:78], null, s13, v97, v[0:1]
	s_waitcnt vmcnt(10)
	v_mad_u64_u32 v[80:81], null, s13, v81, v[26:27]
	v_add_co_u32 v75, vcc_lo, v57, v75
	v_add_co_ci_u32_e32 v76, vcc_lo, v58, v76, vcc_lo
	v_mov_b32_e32 v26, v77
	v_mov_b32_e32 v0, v95
	;; [unrolled: 1-line block ×3, first 2 shown]
	global_store_dwordx2 v[75:76], v[43:44], off
	v_add_nc_u32_e32 v74, 32, v89
	v_lshlrev_b64 v[25:26], 3, v[25:26]
	v_mad_u64_u32 v[43:44], null, s13, v89, v[0:1]
	v_lshlrev_b64 v[47:48], 3, v[51:52]
	v_mad_u64_u32 v[51:52], null, s12, v73, 0
	v_add_co_u32 v25, vcc_lo, v57, v25
	v_add_co_ci_u32_e32 v26, vcc_lo, v58, v26, vcc_lo
	v_mov_b32_e32 v95, v43
	v_mad_u64_u32 v[43:44], null, s12, v74, 0
	global_store_dwordx2 v[25:26], v[41:42], off
	v_mov_b32_e32 v0, v52
	v_lshlrev_b64 v[41:42], 3, v[94:95]
	v_add_co_u32 v25, vcc_lo, v57, v47
	v_add_co_ci_u32_e32 v26, vcc_lo, v58, v48, vcc_lo
	v_mad_u64_u32 v[47:48], null, s13, v73, v[0:1]
	v_add_co_u32 v41, vcc_lo, v57, v41
	v_add_co_ci_u32_e32 v42, vcc_lo, v58, v42, vcc_lo
	v_mov_b32_e32 v0, v44
	global_store_dwordx2 v[25:26], v[45:46], off
	v_mov_b32_e32 v52, v47
	global_store_dwordx2 v[41:42], v[49:50], off
	v_add_nc_u32_e32 v49, 48, v89
	v_mad_u64_u32 v[25:26], null, s13, v74, v[0:1]
	v_add_nc_u32_e32 v50, 64, v89
	v_lshlrev_b64 v[41:42], 3, v[51:52]
	v_mad_u64_u32 v[45:46], null, s12, v49, 0
	v_and_or_b32 v51, 0xc0, v84, v79
	v_mad_u64_u32 v[47:48], null, s12, v50, 0
	v_mov_b32_e32 v44, v25
	v_add_co_u32 v25, vcc_lo, v57, v41
	v_mov_b32_e32 v0, v46
	v_add_co_ci_u32_e32 v26, vcc_lo, v58, v42, vcc_lo
	v_lshlrev_b64 v[41:42], 3, v[43:44]
	v_mov_b32_e32 v43, v48
	v_mad_u64_u32 v[48:49], null, s13, v49, v[0:1]
	global_store_dwordx2 v[25:26], v[53:54], off
	v_mad_u64_u32 v[43:44], null, s13, v50, v[43:44]
	v_mad_u64_u32 v[49:50], null, s12, v51, 0
	v_add_co_u32 v41, vcc_lo, v57, v41
	v_mov_b32_e32 v46, v48
	v_add_co_ci_u32_e32 v42, vcc_lo, v58, v42, vcc_lo
	v_mov_b32_e32 v48, v43
	v_mov_b32_e32 v0, v50
	v_lshlrev_b64 v[25:26], 3, v[45:46]
	global_store_dwordx2 v[41:42], v[55:56], off
	v_add_nc_u32_e32 v46, 16, v51
	v_mad_u64_u32 v[41:42], null, s13, v51, v[0:1]
	v_lshlrev_b64 v[42:43], 3, v[47:48]
	v_add_co_u32 v25, vcc_lo, v57, v25
	v_mad_u64_u32 v[44:45], null, s12, v46, 0
	v_add_co_ci_u32_e32 v26, vcc_lo, v58, v26, vcc_lo
	v_mov_b32_e32 v50, v41
	v_add_co_u32 v41, vcc_lo, v57, v42
	v_add_co_ci_u32_e32 v42, vcc_lo, v58, v43, vcc_lo
	v_add_nc_u32_e32 v43, 32, v51
	v_mov_b32_e32 v0, v45
	global_store_dwordx2 v[25:26], v[71:72], off
	v_lshlrev_b64 v[25:26], 3, v[49:50]
	global_store_dwordx2 v[41:42], v[69:70], off
	v_mad_u64_u32 v[41:42], null, s12, v43, 0
	v_add_nc_u32_e32 v50, 48, v51
	v_mad_u64_u32 v[45:46], null, s13, v46, v[0:1]
	v_add_nc_u32_e32 v51, 64, v51
	v_add_co_u32 v25, vcc_lo, v57, v25
	v_mad_u64_u32 v[46:47], null, s12, v50, 0
	v_mov_b32_e32 v0, v42
	v_add_co_ci_u32_e32 v26, vcc_lo, v58, v26, vcc_lo
	v_mad_u64_u32 v[48:49], null, s12, v51, 0
	v_mad_u64_u32 v[42:43], null, s13, v43, v[0:1]
	v_mov_b32_e32 v0, v47
	global_store_dwordx2 v[25:26], v[59:60], off
	v_lshlrev_b64 v[25:26], 3, v[44:45]
	v_mov_b32_e32 v43, v49
	v_mad_u64_u32 v[44:45], null, s13, v50, v[0:1]
	v_lshlrev_b64 v[41:42], 3, v[41:42]
	v_add_co_u32 v25, vcc_lo, v57, v25
	v_add_co_ci_u32_e32 v26, vcc_lo, v58, v26, vcc_lo
	v_mad_u64_u32 v[49:50], null, s13, v51, v[43:44]
	v_mov_b32_e32 v47, v44
	v_add_co_u32 v41, vcc_lo, v57, v41
	v_add_co_ci_u32_e32 v42, vcc_lo, v58, v42, vcc_lo
	global_store_dwordx2 v[25:26], v[63:64], off
	v_lshlrev_b64 v[25:26], 3, v[46:47]
	global_store_dwordx2 v[41:42], v[61:62], off
	v_lshlrev_b64 v[41:42], 3, v[48:49]
	v_add_co_u32 v25, vcc_lo, v57, v25
	v_add_co_ci_u32_e32 v26, vcc_lo, v58, v26, vcc_lo
	v_add_co_u32 v41, vcc_lo, v57, v41
	v_add_co_ci_u32_e32 v42, vcc_lo, v58, v42, vcc_lo
	global_store_dwordx2 v[25:26], v[65:66], off
	global_store_dwordx2 v[41:42], v[67:68], off
.LBB0_19:
	s_or_b32 exec_lo, exec_lo, s4
.LBB0_20:
	s_and_saveexec_b32 s0, s1
	s_cbranch_execnz .LBB0_22
; %bb.21:
	s_endpgm
.LBB0_22:
	v_mul_f32_e32 v0, v93, v6
	v_mul_f32_e32 v25, v92, v8
	;; [unrolled: 1-line block ×5, first 2 shown]
	v_fmac_f32_e32 v0, v88, v5
	v_fmac_f32_e32 v25, v87, v7
	v_mul_f32_e32 v41, v85, v4
	v_fma_f32 v5, v93, v5, -v6
	v_fma_f32 v6, v92, v7, -v8
	v_add_f32_e32 v7, v82, v0
	v_mul_f32_e32 v4, v91, v4
	v_fmac_f32_e32 v26, v86, v1
	v_mul_f32_e32 v2, v86, v2
	v_fma_f32 v41, v91, v3, -v41
	v_add_f32_e32 v7, v7, v25
	v_fmac_f32_e32 v4, v85, v3
	v_add_f32_e32 v8, v25, v26
	v_fma_f32 v1, v90, v1, -v2
	v_sub_f32_e32 v44, v0, v25
	v_add_f32_e32 v2, v7, v26
	v_add_f32_e32 v7, v0, v4
	v_fma_f32 v42, -0.5, v8, v82
	v_sub_f32_e32 v43, v6, v1
	v_sub_f32_e32 v45, v4, v26
	;; [unrolled: 1-line block ×3, first 2 shown]
	v_fmac_f32_e32 v82, -0.5, v7
	v_sub_f32_e32 v46, v26, v4
	v_add_f32_e32 v47, v6, v1
	v_add_f32_e32 v7, v44, v45
	v_sub_f32_e32 v45, v25, v0
	v_fmamk_f32 v44, v43, 0x3f737871, v82
	v_fmac_f32_e32 v82, 0xbf737871, v43
	v_fmamk_f32 v3, v8, 0xbf737871, v42
	v_fmac_f32_e32 v42, 0x3f737871, v8
	v_add_f32_e32 v45, v45, v46
	v_fmac_f32_e32 v44, 0xbf167918, v8
	v_add_f32_e32 v46, v83, v5
	;; [unrolled: 2-line block ×3, first 2 shown]
	v_add_f32_e32 v2, v2, v4
	v_fma_f32 v47, -0.5, v47, v83
	v_sub_f32_e32 v0, v0, v4
	v_add_f32_e32 v4, v46, v6
	v_fmac_f32_e32 v83, -0.5, v8
	s_waitcnt vmcnt(13)
	v_mul_f32_e32 v8, v18, v20
	v_fmac_f32_e32 v3, 0xbf167918, v43
	v_fmac_f32_e32 v42, 0x3f167918, v43
	v_sub_f32_e32 v25, v25, v26
	v_sub_f32_e32 v26, v5, v6
	;; [unrolled: 1-line block ×3, first 2 shown]
	v_add_f32_e32 v4, v4, v1
	v_sub_f32_e32 v5, v6, v5
	v_mul_f32_e32 v6, v17, v20
	v_fma_f32 v8, v17, v19, -v8
	v_sub_f32_e32 v1, v1, v41
	v_fmac_f32_e32 v3, 0x3e9e377a, v7
	v_fmac_f32_e32 v42, 0x3e9e377a, v7
	;; [unrolled: 1-line block ×3, first 2 shown]
	s_waitcnt vmcnt(12)
	v_mul_f32_e32 v17, v8, v10
	v_add_f32_e32 v1, v5, v1
	s_waitcnt vmcnt(10)
	v_mul_f32_e32 v5, v24, v28
	v_fmamk_f32 v7, v0, 0x3f737871, v47
	v_add_f32_e32 v26, v26, v43
	v_fmamk_f32 v43, v25, 0xbf737871, v83
	v_fmac_f32_e32 v83, 0x3f737871, v25
	v_mul_f32_e32 v10, v6, v10
	v_fmac_f32_e32 v17, v9, v6
	v_mul_f32_e32 v6, v23, v28
	v_fma_f32 v5, v23, v27, -v5
	v_fmac_f32_e32 v7, 0x3f167918, v25
	v_add_f32_e32 v4, v4, v41
	v_fmac_f32_e32 v43, 0x3f167918, v0
	v_fmac_f32_e32 v83, 0xbf167918, v0
	v_fma_f32 v8, v9, v8, -v10
	v_fmac_f32_e32 v6, v24, v27
	s_waitcnt vmcnt(9)
	v_mul_f32_e32 v9, v5, v14
	v_fmac_f32_e32 v47, 0xbf737871, v0
	v_fmac_f32_e32 v7, 0x3e9e377a, v26
	v_mul_f32_e32 v0, v4, v17
	v_fmac_f32_e32 v43, 0x3e9e377a, v1
	v_fmac_f32_e32 v83, 0x3e9e377a, v1
	v_mul_f32_e32 v1, v6, v14
	v_fmac_f32_e32 v9, v13, v6
	v_mul_f32_e32 v6, v2, v17
	s_waitcnt vmcnt(7)
	v_mul_f32_e32 v14, v11, v40
	v_fmac_f32_e32 v0, v2, v8
	v_mul_f32_e32 v10, v12, v40
	v_fma_f32 v5, v13, v5, -v1
	v_mul_f32_e32 v2, v7, v9
	v_fma_f32 v1, v4, v8, -v6
	v_fmac_f32_e32 v14, v12, v39
	v_mul_f32_e32 v4, v3, v9
	s_waitcnt vmcnt(4)
	v_mul_f32_e32 v8, v34, v36
	v_fma_f32 v10, v11, v39, -v10
	v_fmac_f32_e32 v2, v3, v5
	v_mul_f32_e32 v9, v14, v38
	v_fma_f32 v3, v7, v5, -v4
	v_fma_f32 v7, v33, v35, -v8
	s_waitcnt vmcnt(1)
	v_mul_f32_e32 v8, v30, v32
	v_mul_f32_e32 v6, v10, v38
	v_fma_f32 v11, v37, v10, -v9
	v_mul_f32_e32 v10, v29, v32
	v_mul_f32_e32 v5, v33, v36
	v_fma_f32 v12, v29, v31, -v8
	v_fmac_f32_e32 v47, 0xbf167918, v25
	v_mul_f32_e32 v9, v7, v22
	v_fmac_f32_e32 v10, v30, v31
	v_fmac_f32_e32 v5, v34, v35
	s_waitcnt vmcnt(0)
	v_mul_f32_e32 v13, v12, v16
	v_fmac_f32_e32 v47, 0x3e9e377a, v26
	v_fmac_f32_e32 v6, v37, v14
	v_mul_f32_e32 v14, v10, v16
	v_fmac_f32_e32 v44, 0x3e9e377a, v45
	v_fmac_f32_e32 v13, v15, v10
	;; [unrolled: 1-line block ×3, first 2 shown]
	v_mul_f32_e32 v8, v5, v22
	v_fmac_f32_e32 v9, v21, v5
	v_fma_f32 v12, v15, v12, -v14
	v_mul_f32_e32 v10, v47, v13
	v_mul_f32_e32 v4, v43, v6
	;; [unrolled: 1-line block ×3, first 2 shown]
	v_fma_f32 v7, v21, v7, -v8
	v_mul_f32_e32 v6, v83, v9
	v_mul_f32_e32 v16, v82, v9
	v_mad_u64_u32 v[8:9], null, 0x78, s12, v[57:58]
	v_fmac_f32_e32 v10, v42, v12
	v_fmac_f32_e32 v4, v44, v11
	v_fma_f32 v5, v43, v11, -v5
	v_mul_f32_e32 v11, v42, v13
	v_fmac_f32_e32 v6, v82, v7
	v_fma_f32 v7, v83, v7, -v16
	v_mad_u64_u32 v[14:15], null, 0x78, s13, v[9:10]
	v_mad_u64_u32 v[15:16], null, 0x178, s12, v[57:58]
	v_fma_f32 v11, v47, v12, -v11
	v_mad_u64_u32 v[12:13], null, 0xf8, s12, v[57:58]
	v_mad_u64_u32 v[17:18], null, 0x1f8, s12, v[57:58]
	;; [unrolled: 1-line block ×3, first 2 shown]
	v_mov_b32_e32 v9, v14
	v_mov_b32_e32 v14, v16
	global_store_dwordx2 v[8:9], v[0:1], off
	v_mad_u64_u32 v[21:22], null, 0xf8, s13, v[13:14]
	v_mov_b32_e32 v13, v18
	v_mov_b32_e32 v16, v20
	v_mad_u64_u32 v[22:23], null, 0x178, s13, v[14:15]
	v_mad_u64_u32 v[23:24], null, 0x1f8, s13, v[13:14]
	;; [unrolled: 1-line block ×3, first 2 shown]
	v_mov_b32_e32 v13, v21
	v_mov_b32_e32 v16, v22
	;; [unrolled: 1-line block ×4, first 2 shown]
	global_store_dwordx2 v[12:13], v[2:3], off
	global_store_dwordx2 v[15:16], v[4:5], off
	;; [unrolled: 1-line block ×4, first 2 shown]
	s_endpgm
	.section	.rodata,"a",@progbits
	.p2align	6, 0x0
	.amdhsa_kernel fft_rtc_back_len80_factors_2_2_4_5_wgs_255_tpt_5_halfLds_dim2_sp_ip_CI_sbcc_twdbase8_3step_dirReg
		.amdhsa_group_segment_fixed_size 0
		.amdhsa_private_segment_fixed_size 0
		.amdhsa_kernarg_size 88
		.amdhsa_user_sgpr_count 6
		.amdhsa_user_sgpr_private_segment_buffer 1
		.amdhsa_user_sgpr_dispatch_ptr 0
		.amdhsa_user_sgpr_queue_ptr 0
		.amdhsa_user_sgpr_kernarg_segment_ptr 1
		.amdhsa_user_sgpr_dispatch_id 0
		.amdhsa_user_sgpr_flat_scratch_init 0
		.amdhsa_user_sgpr_private_segment_size 0
		.amdhsa_wavefront_size32 1
		.amdhsa_uses_dynamic_stack 0
		.amdhsa_system_sgpr_private_segment_wavefront_offset 0
		.amdhsa_system_sgpr_workgroup_id_x 1
		.amdhsa_system_sgpr_workgroup_id_y 0
		.amdhsa_system_sgpr_workgroup_id_z 0
		.amdhsa_system_sgpr_workgroup_info 0
		.amdhsa_system_vgpr_workitem_id 0
		.amdhsa_next_free_vgpr 125
		.amdhsa_next_free_sgpr 23
		.amdhsa_reserve_vcc 1
		.amdhsa_reserve_flat_scratch 0
		.amdhsa_float_round_mode_32 0
		.amdhsa_float_round_mode_16_64 0
		.amdhsa_float_denorm_mode_32 3
		.amdhsa_float_denorm_mode_16_64 3
		.amdhsa_dx10_clamp 1
		.amdhsa_ieee_mode 1
		.amdhsa_fp16_overflow 0
		.amdhsa_workgroup_processor_mode 1
		.amdhsa_memory_ordered 1
		.amdhsa_forward_progress 0
		.amdhsa_shared_vgpr_count 0
		.amdhsa_exception_fp_ieee_invalid_op 0
		.amdhsa_exception_fp_denorm_src 0
		.amdhsa_exception_fp_ieee_div_zero 0
		.amdhsa_exception_fp_ieee_overflow 0
		.amdhsa_exception_fp_ieee_underflow 0
		.amdhsa_exception_fp_ieee_inexact 0
		.amdhsa_exception_int_div_zero 0
	.end_amdhsa_kernel
	.text
.Lfunc_end0:
	.size	fft_rtc_back_len80_factors_2_2_4_5_wgs_255_tpt_5_halfLds_dim2_sp_ip_CI_sbcc_twdbase8_3step_dirReg, .Lfunc_end0-fft_rtc_back_len80_factors_2_2_4_5_wgs_255_tpt_5_halfLds_dim2_sp_ip_CI_sbcc_twdbase8_3step_dirReg
                                        ; -- End function
	.section	.AMDGPU.csdata,"",@progbits
; Kernel info:
; codeLenInByte = 13036
; NumSgprs: 25
; NumVgprs: 125
; ScratchSize: 0
; MemoryBound: 0
; FloatMode: 240
; IeeeMode: 1
; LDSByteSize: 0 bytes/workgroup (compile time only)
; SGPRBlocks: 3
; VGPRBlocks: 15
; NumSGPRsForWavesPerEU: 25
; NumVGPRsForWavesPerEU: 125
; Occupancy: 8
; WaveLimiterHint : 1
; COMPUTE_PGM_RSRC2:SCRATCH_EN: 0
; COMPUTE_PGM_RSRC2:USER_SGPR: 6
; COMPUTE_PGM_RSRC2:TRAP_HANDLER: 0
; COMPUTE_PGM_RSRC2:TGID_X_EN: 1
; COMPUTE_PGM_RSRC2:TGID_Y_EN: 0
; COMPUTE_PGM_RSRC2:TGID_Z_EN: 0
; COMPUTE_PGM_RSRC2:TIDIG_COMP_CNT: 0
	.text
	.p2alignl 6, 3214868480
	.fill 48, 4, 3214868480
	.type	__hip_cuid_8b215c9f093aa386,@object ; @__hip_cuid_8b215c9f093aa386
	.section	.bss,"aw",@nobits
	.globl	__hip_cuid_8b215c9f093aa386
__hip_cuid_8b215c9f093aa386:
	.byte	0                               ; 0x0
	.size	__hip_cuid_8b215c9f093aa386, 1

	.ident	"AMD clang version 19.0.0git (https://github.com/RadeonOpenCompute/llvm-project roc-6.4.0 25133 c7fe45cf4b819c5991fe208aaa96edf142730f1d)"
	.section	".note.GNU-stack","",@progbits
	.addrsig
	.addrsig_sym __hip_cuid_8b215c9f093aa386
	.amdgpu_metadata
---
amdhsa.kernels:
  - .args:
      - .actual_access:  read_only
        .address_space:  global
        .offset:         0
        .size:           8
        .value_kind:     global_buffer
      - .address_space:  global
        .offset:         8
        .size:           8
        .value_kind:     global_buffer
      - .actual_access:  read_only
        .address_space:  global
        .offset:         16
        .size:           8
        .value_kind:     global_buffer
      - .actual_access:  read_only
        .address_space:  global
        .offset:         24
        .size:           8
        .value_kind:     global_buffer
      - .offset:         32
        .size:           8
        .value_kind:     by_value
      - .actual_access:  read_only
        .address_space:  global
        .offset:         40
        .size:           8
        .value_kind:     global_buffer
      - .actual_access:  read_only
        .address_space:  global
        .offset:         48
        .size:           8
        .value_kind:     global_buffer
      - .offset:         56
        .size:           4
        .value_kind:     by_value
      - .actual_access:  read_only
        .address_space:  global
        .offset:         64
        .size:           8
        .value_kind:     global_buffer
      - .actual_access:  read_only
        .address_space:  global
        .offset:         72
        .size:           8
        .value_kind:     global_buffer
      - .address_space:  global
        .offset:         80
        .size:           8
        .value_kind:     global_buffer
    .group_segment_fixed_size: 0
    .kernarg_segment_align: 8
    .kernarg_segment_size: 88
    .language:       OpenCL C
    .language_version:
      - 2
      - 0
    .max_flat_workgroup_size: 255
    .name:           fft_rtc_back_len80_factors_2_2_4_5_wgs_255_tpt_5_halfLds_dim2_sp_ip_CI_sbcc_twdbase8_3step_dirReg
    .private_segment_fixed_size: 0
    .sgpr_count:     25
    .sgpr_spill_count: 0
    .symbol:         fft_rtc_back_len80_factors_2_2_4_5_wgs_255_tpt_5_halfLds_dim2_sp_ip_CI_sbcc_twdbase8_3step_dirReg.kd
    .uniform_work_group_size: 1
    .uses_dynamic_stack: false
    .vgpr_count:     125
    .vgpr_spill_count: 0
    .wavefront_size: 32
    .workgroup_processor_mode: 1
amdhsa.target:   amdgcn-amd-amdhsa--gfx1030
amdhsa.version:
  - 1
  - 2
...

	.end_amdgpu_metadata
